;; amdgpu-corpus repo=ROCm/rocFFT kind=compiled arch=gfx1201 opt=O3
	.text
	.amdgcn_target "amdgcn-amd-amdhsa--gfx1201"
	.amdhsa_code_object_version 6
	.protected	bluestein_single_fwd_len384_dim1_half_op_CI_CI ; -- Begin function bluestein_single_fwd_len384_dim1_half_op_CI_CI
	.globl	bluestein_single_fwd_len384_dim1_half_op_CI_CI
	.p2align	8
	.type	bluestein_single_fwd_len384_dim1_half_op_CI_CI,@function
bluestein_single_fwd_len384_dim1_half_op_CI_CI: ; @bluestein_single_fwd_len384_dim1_half_op_CI_CI
; %bb.0:
	s_load_b128 s[12:15], s[0:1], 0x28
	v_lshrrev_b32_e32 v1, 5, v0
	v_mov_b32_e32 v28, 0
	s_mov_b32 s2, exec_lo
	s_delay_alu instid0(VALU_DEP_2) | instskip(SKIP_1) | instid1(VALU_DEP_1)
	v_lshl_or_b32 v27, ttmp9, 2, v1
	s_wait_kmcnt 0x0
	v_cmpx_gt_u64_e64 s[12:13], v[27:28]
	s_cbranch_execz .LBB0_2
; %bb.1:
	s_clause 0x2
	s_load_b128 s[4:7], s[0:1], 0x18
	s_load_b128 s[8:11], s[0:1], 0x0
	s_load_b64 s[0:1], s[0:1], 0x38
	s_wait_kmcnt 0x0
	s_load_b128 s[16:19], s[4:5], 0x0
	s_wait_kmcnt 0x0
	v_mad_co_u64_u32 v[2:3], null, s18, v27, 0
	v_and_b32_e32 v75, 31, v0
	s_lshl_b64 s[2:3], s[16:17], 8
	s_mul_i32 s4, s17, 0xfffffb80
	s_delay_alu instid0(SALU_CYCLE_1) | instskip(NEXT) | instid1(VALU_DEP_2)
	s_sub_co_i32 s4, s4, s16
	v_mov_b32_e32 v0, v3
	v_mad_co_u64_u32 v[4:5], null, s16, v75, 0
	v_lshlrev_b32_e32 v28, 2, v75
	s_clause 0x1
	global_load_b32 v41, v28, s[8:9]
	global_load_b32 v38, v28, s[8:9] offset:1024
	v_mov_b32_e32 v3, v5
	v_mad_co_u64_u32 v[5:6], null, s19, v27, v[0:1]
	s_clause 0x9
	global_load_b32 v39, v28, s[8:9] offset:896
	global_load_b32 v43, v28, s[8:9] offset:768
	;; [unrolled: 1-line block ×10, first 2 shown]
	v_mad_co_u64_u32 v[6:7], null, s17, v75, v[3:4]
	v_mov_b32_e32 v3, v5
	s_delay_alu instid0(VALU_DEP_2) | instskip(NEXT) | instid1(VALU_DEP_2)
	v_mov_b32_e32 v5, v6
	v_lshlrev_b64_e32 v[2:3], 2, v[2:3]
	s_delay_alu instid0(VALU_DEP_2) | instskip(NEXT) | instid1(VALU_DEP_2)
	v_lshlrev_b64_e32 v[4:5], 2, v[4:5]
	v_add_co_u32 v0, vcc_lo, s14, v2
	s_delay_alu instid0(VALU_DEP_3) | instskip(NEXT) | instid1(VALU_DEP_2)
	v_add_co_ci_u32_e32 v3, vcc_lo, s15, v3, vcc_lo
	v_add_co_u32 v2, vcc_lo, v0, v4
	s_wait_alu 0xfffd
	s_delay_alu instid0(VALU_DEP_2) | instskip(SKIP_1) | instid1(VALU_DEP_3)
	v_add_co_ci_u32_e32 v3, vcc_lo, v3, v5, vcc_lo
	v_mul_u32_u24_e32 v0, 0x180, v1
	v_add_co_u32 v4, vcc_lo, v2, s2
	s_wait_alu 0xfffd
	s_delay_alu instid0(VALU_DEP_3)
	v_add_co_ci_u32_e32 v5, vcc_lo, s3, v3, vcc_lo
	global_load_b32 v8, v[2:3], off
	v_or_b32_e32 v1, 32, v75
	v_lshl_or_b32 v51, v0, 2, v28
	global_load_b32 v9, v[4:5], off
	v_add_co_u32 v2, vcc_lo, v4, s2
	s_wait_alu 0xfffd
	v_add_co_ci_u32_e32 v3, vcc_lo, s3, v5, vcc_lo
	v_add_nc_u32_e32 v52, 0x400, v51
	s_delay_alu instid0(VALU_DEP_3) | instskip(SKIP_1) | instid1(VALU_DEP_3)
	v_add_co_u32 v4, vcc_lo, v2, s2
	s_wait_alu 0xfffd
	v_add_co_ci_u32_e32 v5, vcc_lo, s3, v3, vcc_lo
	global_load_b32 v11, v[2:3], off
	v_mul_u32_u24_e32 v23, 6, v1
	global_load_b32 v12, v[4:5], off
	v_add_co_u32 v2, vcc_lo, v4, s2
	s_wait_alu 0xfffd
	v_add_co_ci_u32_e32 v3, vcc_lo, s3, v5, vcc_lo
	v_add_lshl_u32 v90, v0, v23, 2
	s_delay_alu instid0(VALU_DEP_3) | instskip(SKIP_1) | instid1(VALU_DEP_3)
	v_add_co_u32 v6, vcc_lo, v2, s2
	s_wait_alu 0xfffd
	v_add_co_ci_u32_e32 v7, vcc_lo, s3, v3, vcc_lo
	global_load_b32 v13, v[2:3], off
	v_mad_co_u64_u32 v[4:5], null, 0xfffffb80, s16, v[6:7]
	global_load_b32 v14, v[6:7], off
	v_or_b32_e32 v6, v0, v75
	v_mul_u32_u24_e32 v7, 6, v75
	v_add_nc_u32_e32 v5, s4, v5
	v_add_co_u32 v2, vcc_lo, v4, s2
	s_delay_alu instid0(VALU_DEP_4) | instskip(NEXT) | instid1(VALU_DEP_4)
	v_lshlrev_b32_e32 v50, 2, v6
	v_add_lshl_u32 v89, v0, v7, 2
	s_wait_alu 0xfffd
	v_add_co_ci_u32_e32 v3, vcc_lo, s3, v5, vcc_lo
	global_load_b32 v15, v[4:5], off
	v_add_co_u32 v4, vcc_lo, v2, s2
	s_wait_alu 0xfffd
	v_add_co_ci_u32_e32 v5, vcc_lo, s3, v3, vcc_lo
	global_load_b32 v16, v[2:3], off
	v_add_co_u32 v2, vcc_lo, v4, s2
	;; [unrolled: 4-line block ×4, first 2 shown]
	s_wait_alu 0xfffd
	v_add_co_ci_u32_e32 v3, vcc_lo, s3, v5, vcc_lo
	global_load_b32 v19, v[4:5], off
	global_load_b32 v20, v[2:3], off
	v_or_b32_e32 v2, 64, v75
	v_mul_lo_u16 v5, v75, 43
	v_mul_lo_u16 v3, v1, 43
	s_load_b128 s[4:7], s[6:7], 0x0
	v_cmp_gt_u32_e32 vcc_lo, 24, v75
	v_mul_lo_u16 v4, v2, 43
	v_lshrrev_b16 v10, 8, v5
	v_lshrrev_b16 v5, 8, v3
	s_delay_alu instid0(VALU_DEP_3) | instskip(NEXT) | instid1(VALU_DEP_3)
	v_lshrrev_b16 v6, 8, v4
	v_mul_lo_u16 v7, v10, 6
	s_delay_alu instid0(VALU_DEP_3)
	v_mul_lo_u16 v21, v5, 6
	v_mul_lo_u16 v10, v10, 24
	v_and_b32_e32 v5, 0xffff, v5
	v_mul_lo_u16 v22, v6, 6
	v_sub_nc_u16 v7, v75, v7
	v_sub_nc_u16 v24, v1, v21
	v_and_b32_e32 v6, 0xffff, v6
	s_delay_alu instid0(VALU_DEP_4)
	v_sub_nc_u16 v25, v2, v22
	s_wait_kmcnt 0x0
	s_lshl_b64 s[50:51], s[4:5], 8
	s_wait_loadcnt 0x15
	v_lshrrev_b32_e32 v59, 16, v39
	s_wait_loadcnt 0x14
	v_lshrrev_b32_e32 v53, 16, v43
	;; [unrolled: 2-line block ×6, first 2 shown]
	v_lshrrev_b32_e32 v63, 16, v41
	s_wait_loadcnt 0xd
	v_lshrrev_b32_e32 v55, 16, v49
	v_lshrrev_b32_e32 v54, 16, v38
	;; [unrolled: 1-line block ×3, first 2 shown]
	s_wait_loadcnt 0xc
	v_lshrrev_b32_e32 v60, 16, v48
	v_lshrrev_b32_e32 v61, 16, v47
	s_wait_loadcnt 0xb
	v_lshrrev_b32_e32 v21, 16, v8
	v_mul_f16_e32 v22, v63, v8
	s_wait_loadcnt 0xa
	v_lshrrev_b32_e32 v29, 16, v9
	v_mul_f16_e32 v30, v64, v9
	v_mul_f16_e32 v26, v63, v21
	v_fma_f16 v21, v41, v21, -v22
	s_delay_alu instid0(VALU_DEP_2)
	v_fmac_f16_e32 v26, v41, v8
	v_mul_f16_e32 v8, v64, v29
	v_fma_f16 v29, v46, v29, -v30
	s_wait_loadcnt 0x9
	v_lshrrev_b32_e32 v22, 16, v11
	v_mul_f16_e32 v30, v62, v11
	v_pack_b32_f16 v21, v26, v21
	v_fmac_f16_e32 v8, v46, v9
	s_wait_loadcnt 0x8
	v_lshrrev_b32_e32 v26, 16, v12
	v_mul_f16_e32 v9, v62, v22
	v_mul_f16_e32 v31, v53, v12
	v_fma_f16 v22, v45, v22, -v30
	v_pack_b32_f16 v8, v8, v29
	ds_store_b32 v50, v21
	ds_store_b32 v50, v8 offset:256
	v_fmac_f16_e32 v9, v45, v11
	v_mul_f16_e32 v11, v53, v26
	v_fma_f16 v26, v43, v26, -v31
	s_wait_loadcnt 0x7
	v_lshrrev_b32_e32 v29, 16, v13
	v_mul_f16_e32 v30, v54, v13
	s_wait_loadcnt 0x6
	v_lshrrev_b32_e32 v31, 16, v14
	v_pack_b32_f16 v8, v9, v22
	v_mul_f16_e32 v21, v55, v14
	v_mul_f16_e32 v9, v54, v29
	v_fmac_f16_e32 v11, v43, v12
	v_mul_f16_e32 v22, v55, v31
	v_fma_f16 v12, v38, v29, -v30
	s_delay_alu instid0(VALU_DEP_4) | instskip(SKIP_1) | instid1(VALU_DEP_4)
	v_fmac_f16_e32 v9, v38, v13
	v_fma_f16 v13, v49, v31, -v21
	v_fmac_f16_e32 v22, v49, v14
	v_pack_b32_f16 v11, v11, v26
	s_wait_loadcnt 0x5
	v_lshrrev_b32_e32 v14, 16, v15
	v_mul_f16_e32 v21, v56, v15
	v_pack_b32_f16 v9, v9, v12
	v_pack_b32_f16 v12, v22, v13
	ds_store_b32 v51, v8 offset:512
	ds_store_b32 v51, v11 offset:768
	;; [unrolled: 1-line block ×4, first 2 shown]
	v_mul_f16_e32 v13, v56, v14
	v_fma_f16 v14, v44, v14, -v21
	s_wait_loadcnt 0x4
	v_lshrrev_b32_e32 v21, 16, v16
	v_mul_f16_e32 v22, v57, v16
	s_wait_loadcnt 0x3
	v_lshrrev_b32_e32 v8, 16, v17
	v_fmac_f16_e32 v13, v44, v15
	v_mul_f16_e32 v12, v58, v17
	v_mul_f16_e32 v9, v57, v21
	v_fma_f16 v11, v42, v21, -v22
	s_wait_loadcnt 0x2
	v_lshrrev_b32_e32 v15, 16, v18
	v_pack_b32_f16 v13, v13, v14
	v_mul_f16_e32 v14, v58, v8
	v_fmac_f16_e32 v9, v42, v16
	v_mul_f16_e32 v16, v59, v18
	v_fma_f16 v8, v40, v8, -v12
	s_wait_loadcnt 0x1
	v_lshrrev_b32_e32 v12, 16, v19
	s_wait_loadcnt 0x0
	v_lshrrev_b32_e32 v21, 16, v20
	v_fmac_f16_e32 v14, v40, v17
	v_mul_f16_e32 v17, v59, v15
	v_fma_f16 v15, v39, v15, -v16
	v_mul_f16_e32 v16, v60, v19
	v_mul_f16_e32 v22, v60, v12
	;; [unrolled: 1-line block ×4, first 2 shown]
	v_fmac_f16_e32 v17, v39, v18
	v_fma_f16 v12, v48, v12, -v16
	v_fmac_f16_e32 v22, v48, v19
	v_fma_f16 v16, v47, v21, -v26
	v_fmac_f16_e32 v29, v47, v20
	v_pack_b32_f16 v9, v9, v11
	v_pack_b32_f16 v8, v14, v8
	;; [unrolled: 1-line block ×5, first 2 shown]
	ds_store_b32 v50, v13 offset:128
	ds_store_b32 v50, v9 offset:384
	;; [unrolled: 1-line block ×6, first 2 shown]
	global_wb scope:SCOPE_SE
	s_wait_dscnt 0x0
	s_barrier_signal -1
	s_barrier_wait -1
	global_inv scope:SCOPE_SE
	ds_load_2addr_b32 v[11:12], v50 offset1:32
	ds_load_2addr_b32 v[13:14], v50 offset0:64 offset1:96
	ds_load_2addr_b32 v[15:16], v51 offset0:128 offset1:160
	;; [unrolled: 1-line block ×3, first 2 shown]
	ds_load_2addr_b32 v[19:20], v52 offset1:32
	ds_load_2addr_b32 v[21:22], v52 offset0:64 offset1:96
	v_mul_lo_u16 v26, v7, 12
	v_and_b32_e32 v9, 0xff, v25
	global_wb scope:SCOPE_SE
	s_wait_dscnt 0x0
	s_barrier_signal -1
	s_barrier_wait -1
	v_and_b32_e32 v25, 0xfc, v26
	global_inv scope:SCOPE_SE
	v_mad_co_u64_u32 v[29:30], null, v9, 12, s[10:11]
	v_or_b32_e32 v7, v10, v7
	v_add_co_u32 v25, s2, s10, v25
	s_wait_alu 0xf1ff
	v_add_co_ci_u32_e64 v26, null, s11, 0, s2
	s_delay_alu instid0(VALU_DEP_3)
	v_and_or_b32 v7, 0xff, v7, v0
	s_add_nc_u64 s[2:3], s[8:9], 0x600
	v_pk_add_f16 v31, v11, v15
	v_pk_add_f16 v32, v13, v17
	;; [unrolled: 1-line block ×5, first 2 shown]
	v_pk_add_f16 v16, v16, v20 neg_lo:[0,1] neg_hi:[0,1]
	v_pk_add_f16 v65, v18, v22
	v_pk_add_f16 v33, v15, v19
	v_pk_add_f16 v15, v15, v19 neg_lo:[0,1] neg_hi:[0,1]
	v_pk_add_f16 v17, v17, v21 neg_lo:[0,1] neg_hi:[0,1]
	v_pk_add_f16 v36, v14, v18
	v_pk_fma_f16 v13, v34, 0.5, v13 op_sel_hi:[1,0,1] neg_lo:[1,0,0] neg_hi:[1,0,0]
	v_pk_add_f16 v18, v18, v22 neg_lo:[0,1] neg_hi:[0,1]
	v_pk_add_f16 v19, v31, v19
	v_pk_add_f16 v21, v32, v21
	v_pk_fma_f16 v12, v37, 0.5, v12 op_sel_hi:[1,0,1] neg_lo:[1,0,0] neg_hi:[1,0,0]
	v_pk_mul_f16 v16, 0x3aee, v16 op_sel_hi:[0,1]
	v_pk_fma_f16 v32, v65, 0.5, v14 op_sel_hi:[1,0,1] neg_lo:[1,0,0] neg_hi:[1,0,0]
	v_pk_fma_f16 v31, v33, 0.5, v11 op_sel_hi:[1,0,1] neg_lo:[1,0,0] neg_hi:[1,0,0]
	v_pk_mul_f16 v15, 0x3aee, v15 op_sel_hi:[0,1]
	v_pk_add_f16 v20, v35, v20
	v_pk_add_f16 v22, v36, v22
	v_pk_fma_f16 v34, 0x3aee, v17, v13 op_sel:[0,0,1] op_sel_hi:[0,1,0]
	v_pk_fma_f16 v13, 0x3aee, v17, v13 op_sel:[0,0,1] op_sel_hi:[0,1,0] neg_lo:[0,1,0] neg_hi:[0,1,0]
	v_pk_add_f16 v11, v19, v21
	v_pk_add_f16 v14, v19, v21 neg_lo:[0,1] neg_hi:[0,1]
	v_pk_add_f16 v17, v12, v16 op_sel:[0,1] op_sel_hi:[1,0]
	v_pk_add_f16 v12, v12, v16 op_sel:[0,1] op_sel_hi:[1,0] neg_lo:[0,1] neg_hi:[0,1]
	v_pk_fma_f16 v16, 0x3aee, v18, v32 op_sel:[0,0,1] op_sel_hi:[0,1,0]
	v_pk_fma_f16 v19, 0x3aee, v18, v32 op_sel:[0,0,1] op_sel_hi:[0,1,0] neg_lo:[0,1,0] neg_hi:[0,1,0]
	v_pk_add_f16 v33, v31, v15 op_sel:[0,1] op_sel_hi:[1,0]
	v_pk_add_f16 v31, v31, v15 op_sel:[0,1] op_sel_hi:[1,0] neg_lo:[0,1] neg_hi:[0,1]
	v_pk_add_f16 v15, v20, v22
	v_pk_add_f16 v18, v20, v22 neg_lo:[0,1] neg_hi:[0,1]
	v_lshrrev_b32_e32 v22, 16, v34
	v_bfi_b32 v32, 0xffff, v34, v13
	v_mul_f16_e32 v34, 0x3aee, v13
	v_lshrrev_b32_e32 v65, 16, v16
	v_bfi_b32 v16, 0xffff, v16, v19
	v_mul_f16_e32 v66, 0x3aee, v19
	v_pk_mul_f16 v68, v32, 0.5 op_sel_hi:[1,0]
	v_fmac_f16_e32 v34, 0.5, v22
	v_mul_f16_e32 v22, 0xbaee, v22
	v_pk_mul_f16 v69, v16, 0.5 op_sel_hi:[1,0]
	v_fmac_f16_e32 v66, 0.5, v65
	v_mul_f16_e32 v65, 0xbaee, v65
	v_lshrrev_b32_e32 v20, 16, v31
	v_bfi_b32 v21, 0xffff, v31, v33
	v_fmac_f16_e32 v22, 0.5, v13
	v_pk_fma_f16 v32, 0xbaee3aee, v32, v68 op_sel:[0,0,1] op_sel_hi:[1,1,0] neg_lo:[0,0,1] neg_hi:[0,0,1]
	v_lshrrev_b32_e32 v36, 16, v12
	v_fmac_f16_e32 v65, 0.5, v19
	v_pk_fma_f16 v16, 0xbaee3aee, v16, v69 op_sel:[0,0,1] op_sel_hi:[1,1,0] neg_lo:[0,0,1] neg_hi:[0,0,1]
	v_lshrrev_b32_e32 v35, 16, v33
	v_add_f16_e32 v19, v20, v22
	v_pk_add_f16 v13, v21, v32
	v_lshrrev_b32_e32 v20, 16, v32
	v_pack_b32_f16 v21, v22, v32
	v_lshrrev_b32_e32 v67, 16, v17
	v_add_f16_e32 v22, v36, v65
	v_lshrrev_b32_e32 v32, 16, v16
	v_pack_b32_f16 v36, v65, v16
	v_add_f16_e32 v70, v33, v34
	v_sub_f16_e32 v33, v33, v34
	v_sub_f16_e32 v20, v35, v20
	v_pk_add_f16 v21, v31, v21 op_sel:[1,0] op_sel_hi:[0,1] neg_lo:[0,1] neg_hi:[0,1]
	v_bfi_b32 v37, 0xffff, v12, v17
	v_add_f16_e32 v34, v17, v66
	v_sub_f16_e32 v66, v17, v66
	v_sub_f16_e32 v31, v67, v32
	v_pk_add_f16 v32, v12, v36 op_sel:[1,0] op_sel_hi:[0,1] neg_lo:[0,1] neg_hi:[0,1]
	v_pack_b32_f16 v12, v70, v19
	v_alignbit_b32 v20, v20, v21, 16
	v_pack_b32_f16 v19, v33, v21
	v_pk_add_f16 v17, v37, v16
	v_pack_b32_f16 v16, v34, v22
	v_alignbit_b32 v22, v31, v32, 16
	v_pack_b32_f16 v21, v66, v32
	ds_store_2addr_b64 v89, v[11:12], v[13:14] offset1:1
	ds_store_b64 v89, v[19:20] offset:16
	ds_store_2addr_b64 v90, v[15:16], v[17:18] offset1:1
	ds_store_b64 v90, v[21:22] offset:16
	v_subrev_nc_u32_e32 v11, 24, v75
	v_and_b32_e32 v8, 0xff, v24
	global_wb scope:SCOPE_SE
	s_wait_dscnt 0x0
	s_barrier_signal -1
	s_barrier_wait -1
	global_inv scope:SCOPE_SE
	v_mad_co_u64_u32 v[23:24], null, v8, 12, s[10:11]
	s_clause 0x2
	global_load_b96 v[18:20], v[25:26], off
	global_load_b96 v[24:26], v[23:24], off
	;; [unrolled: 1-line block ×3, first 2 shown]
	s_wait_alu 0xfffd
	v_cndmask_b32_e32 v29, v11, v75, vcc_lo
	v_lshrrev_b16 v34, 10, v3
	v_lshrrev_b16 v35, 10, v4
	v_add_nc_u32_e32 v65, 0x400, v50
	v_mul_u32_u24_e32 v14, 24, v5
	v_mul_i32_i24_e32 v11, 12, v29
	v_mul_hi_i32_i24_e32 v12, 12, v29
	v_mul_lo_u16 v13, v34, 24
	v_mul_u32_u24_e32 v15, 24, v6
	v_or_b32_e32 v16, v14, v8
	v_add_co_u32 v3, vcc_lo, s10, v11
	v_mul_lo_u16 v11, v35, 24
	s_wait_alu 0xfffd
	v_add_co_ci_u32_e32 v4, vcc_lo, s11, v12, vcc_lo
	v_sub_nc_u16 v1, v1, v13
	v_or_b32_e32 v9, v15, v9
	v_sub_nc_u16 v12, v2, v11
	v_lshlrev_b32_e32 v91, 2, v7
	v_add_lshl_u32 v93, v0, v16, 2
	v_and_b32_e32 v36, 0xff, v1
	ds_load_2addr_b32 v[1:2], v50 offset0:192 offset1:224
	ds_load_2addr_b32 v[5:6], v65 offset1:32
	ds_load_2addr_b32 v[10:11], v50 offset0:128 offset1:160
	v_and_b32_e32 v37, 0xff, v12
	ds_load_2addr_b32 v[12:13], v65 offset0:64 offset1:96
	ds_load_2addr_b32 v[7:8], v50 offset1:32
	ds_load_2addr_b32 v[14:15], v50 offset0:64 offset1:96
	v_add_lshl_u32 v92, v0, v9, 2
	v_mad_co_u64_u32 v[30:31], null, v36, 12, s[10:11]
	v_mad_co_u64_u32 v[32:33], null, v37, 12, s[10:11]
	global_wb scope:SCOPE_SE
	s_wait_loadcnt_dscnt 0x0
	s_barrier_signal -1
	s_barrier_wait -1
	global_inv scope:SCOPE_SE
	v_cmp_lt_u32_e32 vcc_lo, 23, v75
	v_lshrrev_b32_e32 v9, 16, v1
	v_lshrrev_b32_e32 v16, 16, v6
	;; [unrolled: 1-line block ×21, first 2 shown]
	v_mul_f16_e32 v76, v9, v94
	v_mul_f16_e32 v77, v1, v94
	;; [unrolled: 1-line block ×18, first 2 shown]
	v_fma_f16 v1, v1, v19, -v76
	v_fma_f16 v2, v2, v25, -v80
	;; [unrolled: 1-line block ×5, first 2 shown]
	v_fmac_f16_e32 v77, v9, v19
	v_fmac_f16_e32 v79, v16, v20
	;; [unrolled: 1-line block ×5, first 2 shown]
	v_fma_f16 v9, v15, v18, -v107
	v_fmac_f16_e32 v106, v73, v18
	v_fma_f16 v11, v11, v21, -v83
	v_fma_f16 v5, v5, v22, -v85
	;; [unrolled: 1-line block ×3, first 2 shown]
	v_fmac_f16_e32 v86, v68, v21
	v_fmac_f16_e32 v88, v69, v22
	v_fmac_f16_e32 v105, v70, v23
	v_sub_f16_e32 v1, v7, v1
	v_sub_f16_e32 v2, v8, v2
	;; [unrolled: 1-line block ×12, first 2 shown]
	v_fma_f16 v7, v7, 2.0, -v1
	v_fma_f16 v9, v9, 2.0, -v6
	;; [unrolled: 1-line block ×3, first 2 shown]
	v_sub_f16_e32 v15, v1, v15
	v_add_f16_e32 v6, v16, v6
	v_fma_f16 v70, v71, 2.0, -v16
	v_fma_f16 v10, v10, 2.0, -v12
	;; [unrolled: 1-line block ×3, first 2 shown]
	v_sub_f16_e32 v17, v2, v17
	v_add_f16_e32 v12, v66, v12
	v_fma_f16 v8, v8, 2.0, -v2
	v_fma_f16 v72, v72, 2.0, -v66
	;; [unrolled: 1-line block ×6, first 2 shown]
	v_sub_f16_e32 v68, v5, v68
	v_add_f16_e32 v13, v67, v13
	v_fma_f16 v1, v1, 2.0, -v15
	v_fma_f16 v16, v16, 2.0, -v6
	v_pack_b32_f16 v6, v15, v6
	v_fma_f16 v2, v2, 2.0, -v17
	v_fma_f16 v15, v66, 2.0, -v12
	v_pack_b32_f16 v12, v17, v12
	v_sub_f16_e32 v9, v7, v9
	v_sub_f16_e32 v17, v70, v69
	;; [unrolled: 1-line block ×6, first 2 shown]
	v_fma_f16 v5, v5, 2.0, -v68
	v_fma_f16 v67, v67, 2.0, -v13
	v_pack_b32_f16 v13, v68, v13
	v_fma_f16 v7, v7, 2.0, -v9
	v_fma_f16 v68, v70, 2.0, -v17
	;; [unrolled: 1-line block ×6, first 2 shown]
	v_pack_b32_f16 v9, v9, v17
	v_pack_b32_f16 v1, v1, v16
	;; [unrolled: 1-line block ×9, first 2 shown]
	ds_store_2addr_b32 v91, v9, v6 offset0:12 offset1:18
	ds_store_2addr_b32 v91, v7, v1 offset1:6
	ds_store_2addr_b32 v93, v8, v2 offset1:6
	ds_store_2addr_b32 v93, v10, v12 offset0:12 offset1:18
	ds_store_2addr_b32 v92, v14, v5 offset1:6
	ds_store_2addr_b32 v92, v11, v13 offset0:12 offset1:18
	global_wb scope:SCOPE_SE
	s_wait_dscnt 0x0
	s_barrier_signal -1
	s_barrier_wait -1
	global_inv scope:SCOPE_SE
	s_clause 0x2
	global_load_b96 v[15:17], v[3:4], off offset:72
	global_load_b96 v[12:14], v[30:31], off offset:72
	;; [unrolled: 1-line block ×3, first 2 shown]
	s_wait_alu 0xfffd
	v_cndmask_b32_e64 v1, 0, 0x60, vcc_lo
	v_and_b32_e32 v2, 0xffff, v34
	s_delay_alu instid0(VALU_DEP_2) | instskip(SKIP_1) | instid1(VALU_DEP_3)
	v_or_b32_e32 v31, v29, v1
	v_and_b32_e32 v29, 0xffff, v35
	v_mul_u32_u24_e32 v33, 0x60, v2
	ds_load_2addr_b32 v[1:2], v50 offset0:192 offset1:224
	ds_load_2addr_b32 v[3:4], v65 offset1:32
	ds_load_2addr_b32 v[5:6], v50 offset0:64 offset1:96
	ds_load_2addr_b32 v[7:8], v50 offset1:32
	v_or_b32_e32 v35, v0, v31
	v_mul_u32_u24_e32 v34, 0x60, v29
	ds_load_2addr_b32 v[29:30], v50 offset0:128 offset1:160
	v_add_lshl_u32 v76, v0, v31, 2
	ds_load_2addr_b32 v[31:32], v65 offset0:64 offset1:96
	v_or_b32_e32 v36, v33, v36
	v_or_b32_e32 v37, v34, v37
	v_lshlrev_b32_e32 v79, 2, v35
	v_mad_co_u64_u32 v[33:34], null, v75, 12, s[10:11]
	s_delay_alu instid0(VALU_DEP_4) | instskip(NEXT) | instid1(VALU_DEP_4)
	v_add_lshl_u32 v78, v0, v36, 2
	v_add_lshl_u32 v77, v0, v37, 2
	global_wb scope:SCOPE_SE
	s_wait_loadcnt_dscnt 0x0
	s_barrier_signal -1
	s_barrier_wait -1
	v_lshrrev_b32_e32 v0, 16, v1
	v_lshrrev_b32_e32 v66, 16, v2
	;; [unrolled: 1-line block ×12, first 2 shown]
	global_inv scope:SCOPE_SE
	v_lshrrev_b32_e32 v83, 16, v17
	v_lshrrev_b32_e32 v87, 16, v16
	;; [unrolled: 1-line block ×9, first 2 shown]
	v_mul_f16_e32 v74, v4, v83
	v_mul_f16_e32 v103, v0, v87
	;; [unrolled: 1-line block ×13, first 2 shown]
	v_fma_f16 v1, v1, v16, -v103
	v_fma_f16 v2, v2, v13, -v108
	v_mul_f16_e32 v103, v3, v80
	v_mul_f16_e32 v108, v70, v86
	v_fmac_f16_e32 v74, v35, v17
	v_mul_f16_e32 v35, v71, v81
	v_fmac_f16_e32 v105, v36, v15
	;; [unrolled: 2-line block ×3, first 2 shown]
	v_mul_f16_e32 v0, v32, v81
	v_fma_f16 v4, v4, v17, -v104
	v_fma_f16 v6, v6, v15, -v106
	;; [unrolled: 1-line block ×7, first 2 shown]
	v_fmac_f16_e32 v112, v67, v12
	v_fmac_f16_e32 v109, v66, v13
	;; [unrolled: 1-line block ×6, first 2 shown]
	v_sub_f16_e32 v1, v7, v1
	v_sub_f16_e32 v4, v6, v4
	;; [unrolled: 1-line block ×12, first 2 shown]
	v_fma_f16 v6, v6, 2.0, -v4
	v_sub_f16_e32 v69, v1, v35
	v_fma_f16 v35, v105, 2.0, -v35
	v_fma_f16 v37, v37, 2.0, -v66
	;; [unrolled: 1-line block ×6, first 2 shown]
	v_sub_f16_e32 v36, v2, v36
	v_add_f16_e32 v31, v67, v31
	v_fma_f16 v71, v72, 2.0, -v67
	v_fma_f16 v30, v30, 2.0, -v32
	;; [unrolled: 1-line block ×3, first 2 shown]
	v_sub_f16_e32 v0, v3, v0
	v_add_f16_e32 v32, v68, v32
	v_fma_f16 v5, v5, 2.0, -v3
	v_fma_f16 v73, v73, 2.0, -v68
	v_sub_f16_e32 v6, v7, v6
	v_sub_f16_e32 v35, v37, v35
	v_add_f16_e32 v4, v66, v4
	v_fma_f16 v2, v2, 2.0, -v36
	v_fma_f16 v67, v67, 2.0, -v31
	v_pack_b32_f16 v31, v36, v31
	v_fma_f16 v3, v3, 2.0, -v0
	v_fma_f16 v36, v68, 2.0, -v32
	v_pack_b32_f16 v0, v0, v32
	v_sub_f16_e32 v29, v8, v29
	v_sub_f16_e32 v32, v71, v70
	;; [unrolled: 1-line block ×4, first 2 shown]
	v_fma_f16 v7, v7, 2.0, -v6
	v_fma_f16 v37, v37, 2.0, -v35
	;; [unrolled: 1-line block ×4, first 2 shown]
	v_pack_b32_f16 v6, v6, v35
	v_fma_f16 v8, v8, 2.0, -v29
	v_fma_f16 v35, v71, 2.0, -v32
	v_pack_b32_f16 v29, v29, v32
	v_fma_f16 v5, v5, 2.0, -v30
	v_fma_f16 v32, v73, 2.0, -v68
	v_pack_b32_f16 v7, v7, v37
	v_pack_b32_f16 v1, v1, v66
	;; [unrolled: 1-line block ×8, first 2 shown]
	ds_store_b32 v79, v7
	ds_store_2addr_b32 v76, v1, v6 offset0:24 offset1:48
	ds_store_b32 v76, v4 offset:288
	ds_store_2addr_b32 v78, v8, v2 offset1:24
	ds_store_2addr_b32 v78, v29, v31 offset0:48 offset1:72
	ds_store_2addr_b32 v77, v5, v3 offset1:24
	ds_store_2addr_b32 v77, v30, v0 offset0:48 offset1:72
	global_wb scope:SCOPE_SE
	s_wait_dscnt 0x0
	s_barrier_signal -1
	s_barrier_wait -1
	global_inv scope:SCOPE_SE
	s_clause 0x2
	global_load_b96 v[0:2], v[33:34], off offset:360
	global_load_b96 v[3:5], v[33:34], off offset:744
	;; [unrolled: 1-line block ×3, first 2 shown]
	ds_load_2addr_b32 v[29:30], v50 offset0:192 offset1:224
	ds_load_2addr_b32 v[31:32], v50 offset0:128 offset1:160
	ds_load_2addr_b32 v[33:34], v65 offset1:32
	ds_load_2addr_b32 v[35:36], v65 offset0:64 offset1:96
	s_wait_dscnt 0x3
	v_lshrrev_b32_e32 v37, 16, v29
	v_lshrrev_b32_e32 v74, 16, v30
	s_wait_dscnt 0x2
	v_lshrrev_b32_e32 v103, 16, v31
	s_wait_dscnt 0x0
	v_lshrrev_b32_e32 v107, 16, v35
	v_lshrrev_b32_e32 v105, 16, v34
	;; [unrolled: 1-line block ×5, first 2 shown]
	s_wait_loadcnt 0x2
	v_lshrrev_b32_e32 v71, 16, v1
	s_wait_loadcnt 0x1
	v_lshrrev_b32_e32 v70, 16, v5
	v_lshrrev_b32_e32 v68, 16, v4
	v_lshrrev_b32_e32 v69, 16, v3
	v_lshrrev_b32_e32 v72, 16, v2
	v_mul_f16_e32 v73, v37, v71
	s_wait_loadcnt 0x0
	v_lshrrev_b32_e32 v66, 16, v6
	v_lshrrev_b32_e32 v67, 16, v7
	v_mul_f16_e32 v108, v74, v68
	v_mul_f16_e32 v109, v29, v71
	v_fma_f16 v115, v29, v1, -v73
	v_mul_f16_e32 v73, v107, v70
	v_mul_f16_e32 v111, v103, v69
	;; [unrolled: 1-line block ×5, first 2 shown]
	v_fma_f16 v117, v35, v5, -v73
	v_lshrrev_b32_e32 v73, 16, v8
	v_mul_f16_e32 v113, v31, v69
	v_fma_f16 v108, v30, v4, -v108
	v_mul_f16_e32 v30, v106, v67
	v_fma_f16 v31, v31, v3, -v111
	;; [unrolled: 2-line block ×3, first 2 shown]
	v_mul_f16_e32 v29, v116, v73
	v_mul_f16_e32 v114, v32, v66
	v_fma_f16 v32, v32, v6, -v112
	v_fma_f16 v112, v33, v7, -v30
	v_mul_f16_e32 v33, v33, v67
	v_fma_f16 v118, v36, v8, -v29
	ds_load_2addr_b32 v[29:30], v50 offset1:32
	v_mul_f16_e32 v35, v35, v70
	v_fmac_f16_e32 v113, v103, v3
	v_fmac_f16_e32 v114, v104, v6
	;; [unrolled: 1-line block ×7, first 2 shown]
	v_lshrrev_b32_e32 v74, 16, v0
	v_mul_f16_e32 v36, v36, v73
	v_sub_f16_e32 v35, v113, v35
	s_delay_alu instid0(VALU_DEP_2) | instskip(NEXT) | instid1(VALU_DEP_2)
	v_fmac_f16_e32 v36, v116, v8
	v_fma_f16 v113, v113, 2.0, -v35
	s_wait_dscnt 0x0
	v_sub_f16_e32 v103, v29, v115
	v_sub_f16_e32 v104, v30, v108
	v_lshrrev_b32_e32 v37, 16, v29
	v_lshrrev_b32_e32 v105, 16, v30
	v_sub_f16_e32 v36, v114, v36
	v_fma_f16 v106, v29, 2.0, -v103
	v_fma_f16 v107, v30, 2.0, -v104
	ds_load_2addr_b32 v[29:30], v50 offset0:64 offset1:96
	v_sub_f16_e32 v109, v37, v109
	v_sub_f16_e32 v110, v105, v110
	;; [unrolled: 1-line block ×3, first 2 shown]
	v_fma_f16 v114, v114, 2.0, -v36
	s_delay_alu instid0(VALU_DEP_4) | instskip(NEXT) | instid1(VALU_DEP_4)
	v_fma_f16 v37, v37, 2.0, -v109
	v_fma_f16 v105, v105, 2.0, -v110
	s_delay_alu instid0(VALU_DEP_4) | instskip(NEXT) | instid1(VALU_DEP_2)
	v_fma_f16 v104, v104, 2.0, -v35
	v_sub_f16_e32 v113, v105, v113
	s_delay_alu instid0(VALU_DEP_1) | instskip(SKIP_4) | instid1(VALU_DEP_2)
	v_fma_f16 v105, v105, 2.0, -v113
	s_wait_dscnt 0x0
	v_lshrrev_b32_e32 v108, 16, v30
	v_mul_f16_e32 v115, v30, v74
	v_sub_f16_e32 v112, v29, v112
	v_fmac_f16_e32 v115, v108, v0
	v_mul_f16_e32 v108, v108, v74
	s_delay_alu instid0(VALU_DEP_3) | instskip(NEXT) | instid1(VALU_DEP_3)
	v_sub_f16_e32 v36, v112, v36
	v_sub_f16_e32 v111, v115, v111
	s_delay_alu instid0(VALU_DEP_3)
	v_fma_f16 v30, v30, v0, -v108
	v_lshrrev_b32_e32 v108, 16, v29
	v_fma_f16 v29, v29, 2.0, -v112
	v_fma_f16 v112, v112, 2.0, -v36
	;; [unrolled: 1-line block ×3, first 2 shown]
	v_sub_f16_e32 v34, v30, v34
	v_sub_f16_e32 v111, v103, v111
	v_sub_f16_e32 v33, v108, v33
	s_delay_alu instid0(VALU_DEP_3) | instskip(SKIP_1) | instid1(VALU_DEP_4)
	v_fma_f16 v30, v30, 2.0, -v34
	v_add_f16_e32 v34, v109, v34
	v_fma_f16 v103, v103, 2.0, -v111
	s_delay_alu instid0(VALU_DEP_4) | instskip(NEXT) | instid1(VALU_DEP_4)
	v_fma_f16 v108, v108, 2.0, -v33
	v_sub_f16_e32 v30, v106, v30
	s_delay_alu instid0(VALU_DEP_4)
	v_fma_f16 v109, v109, 2.0, -v34
	v_pack_b32_f16 v34, v111, v34
	v_sub_f16_e32 v111, v31, v117
	v_sub_f16_e32 v114, v108, v114
	v_fma_f16 v106, v106, 2.0, -v30
	v_pack_b32_f16 v103, v103, v109
	s_delay_alu instid0(VALU_DEP_4) | instskip(SKIP_2) | instid1(VALU_DEP_3)
	v_fma_f16 v31, v31, 2.0, -v111
	v_add_f16_e32 v111, v110, v111
	v_fma_f16 v108, v108, 2.0, -v114
	v_sub_f16_e32 v31, v107, v31
	s_delay_alu instid0(VALU_DEP_3) | instskip(SKIP_2) | instid1(VALU_DEP_4)
	v_fma_f16 v110, v110, 2.0, -v111
	v_pack_b32_f16 v35, v35, v111
	v_sub_f16_e32 v111, v32, v118
	v_fma_f16 v107, v107, 2.0, -v31
	s_delay_alu instid0(VALU_DEP_4) | instskip(SKIP_1) | instid1(VALU_DEP_4)
	v_pack_b32_f16 v104, v104, v110
	v_pack_b32_f16 v31, v31, v113
	v_fma_f16 v32, v32, 2.0, -v111
	v_add_f16_e32 v111, v33, v111
	v_pack_b32_f16 v105, v107, v105
	s_delay_alu instid0(VALU_DEP_3) | instskip(NEXT) | instid1(VALU_DEP_3)
	v_sub_f16_e32 v32, v29, v32
	v_fma_f16 v33, v33, 2.0, -v111
	v_pack_b32_f16 v36, v36, v111
	v_sub_f16_e32 v111, v37, v115
	s_delay_alu instid0(VALU_DEP_4) | instskip(NEXT) | instid1(VALU_DEP_4)
	v_fma_f16 v29, v29, 2.0, -v32
	v_pack_b32_f16 v33, v112, v33
	v_pack_b32_f16 v32, v32, v114
	s_delay_alu instid0(VALU_DEP_4) | instskip(SKIP_2) | instid1(VALU_DEP_3)
	v_fma_f16 v37, v37, 2.0, -v111
	v_pack_b32_f16 v30, v30, v111
	v_pack_b32_f16 v29, v29, v108
	;; [unrolled: 1-line block ×3, first 2 shown]
	ds_store_b32 v50, v103 offset:384
	ds_store_b32 v50, v37
	ds_store_b32 v51, v30 offset:768
	ds_store_b32 v51, v34 offset:1152
	;; [unrolled: 1-line block ×10, first 2 shown]
	global_wb scope:SCOPE_SE
	s_wait_dscnt 0x0
	s_barrier_signal -1
	s_barrier_wait -1
	global_inv scope:SCOPE_SE
	s_clause 0xb
	global_load_b32 v29, v28, s[8:9] offset:1536
	global_load_b32 v30, v28, s[2:3] offset:256
	;; [unrolled: 1-line block ×12, first 2 shown]
	ds_load_b32 v105, v50
	ds_load_b32 v106, v50 offset:256
	s_mul_i32 s2, s5, 0xfffffb80
	s_wait_alu 0xfffe
	s_sub_co_i32 s2, s2, s4
	s_wait_dscnt 0x1
	v_lshrrev_b32_e32 v107, 16, v105
	s_wait_dscnt 0x0
	v_lshrrev_b32_e32 v109, 16, v106
	s_wait_loadcnt 0xb
	v_lshrrev_b32_e32 v108, 16, v29
	s_wait_loadcnt 0xa
	v_lshrrev_b32_e32 v110, 16, v30
	s_delay_alu instid0(VALU_DEP_2) | instskip(SKIP_1) | instid1(VALU_DEP_3)
	v_mul_f16_e32 v111, v107, v108
	v_mul_f16_e32 v108, v105, v108
	;; [unrolled: 1-line block ×4, first 2 shown]
	s_delay_alu instid0(VALU_DEP_4) | instskip(NEXT) | instid1(VALU_DEP_4)
	v_fma_f16 v105, v105, v29, -v111
	v_fmac_f16_e32 v108, v107, v29
	s_delay_alu instid0(VALU_DEP_4) | instskip(NEXT) | instid1(VALU_DEP_4)
	v_fma_f16 v29, v106, v30, -v112
	v_fmac_f16_e32 v110, v109, v30
	s_delay_alu instid0(VALU_DEP_3) | instskip(NEXT) | instid1(VALU_DEP_2)
	v_pack_b32_f16 v30, v105, v108
	v_pack_b32_f16 v29, v29, v110
	ds_store_b32 v50, v30
	ds_store_b32 v50, v29 offset:256
	ds_load_b32 v29, v51 offset:512
	s_wait_loadcnt 0x9
	v_lshrrev_b32_e32 v30, 16, v31
	s_wait_dscnt 0x0
	v_lshrrev_b32_e32 v105, 16, v29
	s_delay_alu instid0(VALU_DEP_2) | instskip(NEXT) | instid1(VALU_DEP_2)
	v_mul_f16_e32 v106, v29, v30
	v_mul_f16_e32 v30, v105, v30
	s_delay_alu instid0(VALU_DEP_2) | instskip(NEXT) | instid1(VALU_DEP_2)
	v_fmac_f16_e32 v106, v105, v31
	v_fma_f16 v29, v29, v31, -v30
	s_wait_loadcnt 0x8
	v_lshrrev_b32_e32 v30, 16, v32
	s_delay_alu instid0(VALU_DEP_2)
	v_pack_b32_f16 v29, v29, v106
	ds_store_b32 v51, v29 offset:512
	ds_load_b32 v29, v50 offset:768
	s_wait_dscnt 0x0
	v_lshrrev_b32_e32 v31, 16, v29
	v_mul_f16_e32 v105, v29, v30
	s_delay_alu instid0(VALU_DEP_2) | instskip(NEXT) | instid1(VALU_DEP_2)
	v_mul_f16_e32 v30, v31, v30
	v_fmac_f16_e32 v105, v31, v32
	s_wait_loadcnt 0x7
	v_lshrrev_b32_e32 v31, 16, v33
	s_delay_alu instid0(VALU_DEP_3) | instskip(SKIP_2) | instid1(VALU_DEP_2)
	v_fma_f16 v29, v29, v32, -v30
	s_wait_loadcnt 0x6
	v_lshrrev_b32_e32 v32, 16, v34
	v_pack_b32_f16 v29, v29, v105
	ds_store_b32 v50, v29 offset:768
	ds_load_b32 v29, v51 offset:1024
	ds_load_b32 v30, v51 offset:1280
	s_wait_dscnt 0x1
	v_lshrrev_b32_e32 v105, 16, v29
	s_wait_dscnt 0x0
	v_lshrrev_b32_e32 v106, 16, v30
	v_mul_f16_e32 v107, v29, v31
	v_mul_f16_e32 v108, v30, v32
	v_mul_f16_e32 v31, v105, v31
	s_delay_alu instid0(VALU_DEP_4) | instskip(NEXT) | instid1(VALU_DEP_4)
	v_mul_f16_e32 v32, v106, v32
	v_fmac_f16_e32 v107, v105, v33
	s_delay_alu instid0(VALU_DEP_4) | instskip(NEXT) | instid1(VALU_DEP_4)
	v_fmac_f16_e32 v108, v106, v34
	v_fma_f16 v29, v29, v33, -v31
	s_delay_alu instid0(VALU_DEP_4)
	v_fma_f16 v30, v30, v34, -v32
	s_wait_loadcnt 0x2
	v_lshrrev_b32_e32 v31, 16, v103
	v_lshrrev_b32_e32 v32, 16, v37
	v_pack_b32_f16 v29, v29, v107
	v_pack_b32_f16 v30, v30, v108
	ds_store_b32 v51, v29 offset:1024
	ds_store_b32 v51, v30 offset:1280
	ds_load_b32 v29, v50 offset:128
	ds_load_b32 v30, v50 offset:384
	s_wait_dscnt 0x1
	v_lshrrev_b32_e32 v33, 16, v29
	s_wait_dscnt 0x0
	v_lshrrev_b32_e32 v34, 16, v30
	v_mul_f16_e32 v105, v29, v31
	v_mul_f16_e32 v106, v30, v32
	;; [unrolled: 1-line block ×3, first 2 shown]
	s_delay_alu instid0(VALU_DEP_4) | instskip(NEXT) | instid1(VALU_DEP_4)
	v_mul_f16_e32 v32, v34, v32
	v_fmac_f16_e32 v105, v33, v103
	s_delay_alu instid0(VALU_DEP_4) | instskip(NEXT) | instid1(VALU_DEP_4)
	v_fmac_f16_e32 v106, v34, v37
	v_fma_f16 v29, v29, v103, -v31
	s_delay_alu instid0(VALU_DEP_4) | instskip(NEXT) | instid1(VALU_DEP_2)
	v_fma_f16 v30, v30, v37, -v32
	v_pack_b32_f16 v29, v29, v105
	s_delay_alu instid0(VALU_DEP_2)
	v_pack_b32_f16 v30, v30, v106
	ds_store_b32 v50, v29 offset:128
	ds_store_b32 v50, v30 offset:384
	ds_load_b32 v29, v51 offset:640
	v_lshrrev_b32_e32 v30, 16, v36
	s_wait_dscnt 0x0
	v_lshrrev_b32_e32 v31, 16, v29
	s_delay_alu instid0(VALU_DEP_2) | instskip(NEXT) | instid1(VALU_DEP_2)
	v_mul_f16_e32 v32, v29, v30
	v_mul_f16_e32 v30, v31, v30
	s_delay_alu instid0(VALU_DEP_2) | instskip(NEXT) | instid1(VALU_DEP_2)
	v_fmac_f16_e32 v32, v31, v36
	v_fma_f16 v29, v29, v36, -v30
	v_lshrrev_b32_e32 v30, 16, v35
	s_delay_alu instid0(VALU_DEP_2)
	v_pack_b32_f16 v29, v29, v32
	ds_store_b32 v51, v29 offset:640
	ds_load_b32 v29, v50 offset:896
	s_wait_dscnt 0x0
	v_lshrrev_b32_e32 v31, 16, v29
	v_mul_f16_e32 v32, v29, v30
	s_delay_alu instid0(VALU_DEP_2) | instskip(NEXT) | instid1(VALU_DEP_2)
	v_mul_f16_e32 v30, v31, v30
	v_fmac_f16_e32 v32, v31, v35
	s_wait_loadcnt 0x0
	v_lshrrev_b32_e32 v31, 16, v28
	s_delay_alu instid0(VALU_DEP_3) | instskip(NEXT) | instid1(VALU_DEP_1)
	v_fma_f16 v29, v29, v35, -v30
	v_pack_b32_f16 v29, v29, v32
	v_lshrrev_b32_e32 v32, 16, v104
	ds_store_b32 v50, v29 offset:896
	ds_load_b32 v29, v51 offset:1152
	ds_load_b32 v30, v51 offset:1408
	s_wait_dscnt 0x1
	v_lshrrev_b32_e32 v33, 16, v29
	s_wait_dscnt 0x0
	v_lshrrev_b32_e32 v34, 16, v30
	v_mul_f16_e32 v35, v29, v31
	v_mul_f16_e32 v36, v30, v32
	;; [unrolled: 1-line block ×3, first 2 shown]
	s_delay_alu instid0(VALU_DEP_4) | instskip(NEXT) | instid1(VALU_DEP_4)
	v_mul_f16_e32 v32, v34, v32
	v_fmac_f16_e32 v35, v33, v28
	s_delay_alu instid0(VALU_DEP_4) | instskip(NEXT) | instid1(VALU_DEP_4)
	v_fmac_f16_e32 v36, v34, v104
	v_fma_f16 v28, v29, v28, -v31
	s_delay_alu instid0(VALU_DEP_4) | instskip(NEXT) | instid1(VALU_DEP_2)
	v_fma_f16 v29, v30, v104, -v32
	v_pack_b32_f16 v28, v28, v35
	s_delay_alu instid0(VALU_DEP_2)
	v_pack_b32_f16 v29, v29, v36
	ds_store_b32 v51, v28 offset:1152
	ds_store_b32 v51, v29 offset:1408
	global_wb scope:SCOPE_SE
	s_wait_dscnt 0x0
	s_barrier_signal -1
	s_barrier_wait -1
	global_inv scope:SCOPE_SE
	ds_load_2addr_b32 v[28:29], v50 offset0:192 offset1:224
	ds_load_2addr_b32 v[30:31], v52 offset0:64 offset1:96
	;; [unrolled: 1-line block ×3, first 2 shown]
	ds_load_2addr_b32 v[32:33], v52 offset1:32
	ds_load_2addr_b32 v[34:35], v50 offset1:32
	ds_load_2addr_b32 v[36:37], v50 offset0:64 offset1:96
	global_wb scope:SCOPE_SE
	s_wait_dscnt 0x0
	s_barrier_signal -1
	s_barrier_wait -1
	global_inv scope:SCOPE_SE
	v_pk_add_f16 v105, v28, v30
	v_pk_add_f16 v103, v28, v30 neg_lo:[0,1] neg_hi:[0,1]
	v_pk_add_f16 v106, v108, v32
	v_pk_add_f16 v104, v108, v32 neg_lo:[0,1] neg_hi:[0,1]
	v_pk_add_f16 v107, v34, v108
	v_pk_add_f16 v108, v36, v28
	;; [unrolled: 1-line block ×6, first 2 shown]
	v_pk_fma_f16 v36, v105, 0.5, v36 op_sel_hi:[1,0,1] neg_lo:[1,0,0] neg_hi:[1,0,0]
	v_pk_add_f16 v109, v109, v33 neg_lo:[0,1] neg_hi:[0,1]
	v_pk_add_f16 v112, v29, v31 neg_lo:[0,1] neg_hi:[0,1]
	v_pk_fma_f16 v34, v106, 0.5, v34 op_sel_hi:[1,0,1] neg_lo:[1,0,0] neg_hi:[1,0,0]
	v_pk_add_f16 v105, v107, v32
	v_pk_add_f16 v106, v108, v30
	;; [unrolled: 1-line block ×3, first 2 shown]
	v_pk_fma_f16 v30, v111, 0.5, v35 op_sel_hi:[1,0,1] neg_lo:[1,0,0] neg_hi:[1,0,0]
	v_pk_fma_f16 v32, v113, 0.5, v37 op_sel_hi:[1,0,1] neg_lo:[1,0,0] neg_hi:[1,0,0]
	v_pk_add_f16 v108, v114, v31
	v_pk_fma_f16 v31, 0x3aee, v103, v36 op_sel:[0,0,1] op_sel_hi:[0,1,0]
	v_pk_fma_f16 v33, 0x3aee, v103, v36 op_sel:[0,0,1] op_sel_hi:[0,1,0] neg_lo:[0,1,0] neg_hi:[0,1,0]
	v_pk_fma_f16 v35, 0x3aee, v104, v34 op_sel:[0,0,1] op_sel_hi:[0,1,0] neg_lo:[0,1,0] neg_hi:[0,1,0]
	v_pk_fma_f16 v34, 0x3aee, v104, v34 op_sel:[0,0,1] op_sel_hi:[0,1,0]
	v_pk_fma_f16 v36, 0x3aee, v112, v32 op_sel:[0,0,1] op_sel_hi:[0,1,0] neg_lo:[0,1,0] neg_hi:[0,1,0]
	v_pk_fma_f16 v32, 0x3aee, v112, v32 op_sel:[0,0,1] op_sel_hi:[0,1,0]
	;; [unrolled: 2-line block ×3, first 2 shown]
	v_lshrrev_b32_e32 v30, 16, v33
	v_mul_f16_e32 v37, 0xbaee, v31
	v_pk_mul_f16 v109, 0x3aee, v33 op_sel_hi:[0,1]
	v_lshrrev_b32_e32 v110, 16, v31
	v_mul_f16_e32 v33, -0.5, v33
	v_lshrrev_b32_e32 v111, 16, v35
	v_lshrrev_b32_e32 v112, 16, v36
	v_mul_f16_e32 v113, 0xbaee, v32
	v_fmac_f16_e32 v37, 0.5, v30
	v_pk_fma_f16 v114, 0xb8003800, v31, v109 op_sel:[0,0,1] op_sel_hi:[1,1,0]
	v_pk_fma_f16 v109, 0xb8003800, v31, v109 op_sel:[0,0,1] op_sel_hi:[1,1,0] neg_lo:[0,0,1] neg_hi:[0,0,1]
	v_fmac_f16_e32 v33, 0x3aee, v110
	v_fmac_f16_e32 v113, 0.5, v112
	v_add_f16_e32 v111, v111, v37
	v_pack_b32_f16 v37, v37, v114
	v_bfi_b32 v112, 0xffff, v114, v109
	v_pk_mul_f16 v114, 0x3aee, v36 op_sel_hi:[0,1]
	v_alignbit_b32 v110, v34, v35, 16
	v_alignbit_b32 v109, v33, v109, 16
	v_add_f16_e32 v115, v35, v33
	v_alignbit_b32 v33, v35, v34, 16
	v_pk_add_f16 v112, v34, v112
	v_pk_fma_f16 v116, 0xb8003800, v32, v114 op_sel:[0,0,1] op_sel_hi:[1,1,0]
	v_pk_fma_f16 v114, 0xb8003800, v32, v114 op_sel:[0,0,1] op_sel_hi:[1,1,0] neg_lo:[0,0,1] neg_hi:[0,0,1]
	v_lshrrev_b32_e32 v34, 16, v32
	v_mul_f16_e32 v117, -0.5, v36
	v_pk_add_f16 v35, v105, v106 neg_lo:[0,1] neg_hi:[0,1]
	v_pk_add_f16 v36, v105, v106
	v_lshrrev_b32_e32 v105, 16, v103
	v_bfi_b32 v106, 0xffff, v116, v114
	v_fmac_f16_e32 v117, 0x3aee, v34
	v_pk_add_f16 v32, v110, v37 neg_lo:[0,1] neg_hi:[0,1]
	v_pk_add_f16 v33, v33, v109 neg_lo:[0,1] neg_hi:[0,1]
	v_alignbit_b32 v34, v115, v112, 16
	v_pack_b32_f16 v37, v111, v112
	v_add_f16_e32 v109, v105, v113
	v_alignbit_b32 v111, v104, v103, 16
	v_pk_add_f16 v106, v104, v106
	v_alignbit_b32 v112, v103, v104, 16
	v_add_f16_e32 v103, v103, v117
	v_pack_b32_f16 v110, v113, v116
	v_alignbit_b32 v113, v117, v114, 16
	v_mad_co_u64_u32 v[28:29], null, s6, v27, 0
	v_mad_co_u64_u32 v[30:31], null, s4, v75, 0
	v_alignbit_b32 v103, v103, v106, 16
	v_pk_add_f16 v104, v107, v108 neg_lo:[0,1] neg_hi:[0,1]
	v_pk_add_f16 v105, v107, v108
	v_pack_b32_f16 v106, v109, v106
	v_pk_add_f16 v107, v111, v110 neg_lo:[0,1] neg_hi:[0,1]
	v_pk_add_f16 v108, v112, v113 neg_lo:[0,1] neg_hi:[0,1]
	ds_store_2addr_b64 v89, v[36:37], v[34:35] offset1:1
	ds_store_b64 v89, v[32:33] offset:16
	ds_store_2addr_b64 v90, v[105:106], v[103:104] offset1:1
	ds_store_b64 v90, v[107:108] offset:16
	global_wb scope:SCOPE_SE
	s_wait_dscnt 0x0
	s_barrier_signal -1
	s_barrier_wait -1
	global_inv scope:SCOPE_SE
	ds_load_2addr_b32 v[34:35], v50 offset0:128 offset1:160
	ds_load_2addr_b32 v[32:33], v50 offset0:192 offset1:224
	ds_load_2addr_b32 v[89:90], v65 offset0:64 offset1:96
	v_mad_co_u64_u32 v[36:37], null, s7, v27, v[29:30]
	v_mov_b32_e32 v27, v31
	s_delay_alu instid0(VALU_DEP_1) | instskip(NEXT) | instid1(VALU_DEP_3)
	v_mad_co_u64_u32 v[103:104], null, s5, v75, v[27:28]
	v_mov_b32_e32 v29, v36
	ds_load_2addr_b32 v[36:37], v65 offset1:32
	ds_load_2addr_b32 v[104:105], v50 offset0:64 offset1:96
	ds_load_2addr_b32 v[106:107], v50 offset1:32
	global_wb scope:SCOPE_SE
	s_wait_dscnt 0x0
	s_barrier_signal -1
	s_barrier_wait -1
	global_inv scope:SCOPE_SE
	v_lshrrev_b32_e32 v27, 16, v34
	v_lshrrev_b32_e32 v75, 16, v33
	;; [unrolled: 1-line block ×3, first 2 shown]
	v_mul_f16_e32 v108, v101, v33
	v_mul_f16_e32 v110, v100, v89
	;; [unrolled: 1-line block ×5, first 2 shown]
	v_lshrrev_b32_e32 v111, 16, v35
	v_mul_f16_e32 v101, v101, v75
	v_fma_f16 v75, v25, v75, -v108
	v_lshrrev_b32_e32 v108, 16, v36
	v_fma_f16 v109, v26, v109, -v110
	v_mul_f16_e32 v110, v98, v36
	v_fma_f16 v27, v24, v27, -v31
	v_fmac_f16_e32 v102, v24, v34
	v_fmac_f16_e32 v100, v26, v89
	v_lshrrev_b32_e32 v24, 16, v32
	v_lshrrev_b32_e32 v26, 16, v37
	;; [unrolled: 1-line block ×3, first 2 shown]
	v_mul_f16_e32 v112, v99, v35
	v_lshrrev_b32_e32 v113, 16, v90
	v_fmac_f16_e32 v101, v25, v33
	v_mul_f16_e32 v33, v99, v111
	v_mul_f16_e32 v98, v98, v108
	v_fma_f16 v99, v22, v108, -v110
	v_mul_f16_e32 v108, v96, v105
	v_mul_f16_e32 v110, v95, v37
	;; [unrolled: 1-line block ×8, first 2 shown]
	v_fma_f16 v89, v18, v89, -v108
	v_fma_f16 v26, v20, v26, -v110
	v_lshrrev_b32_e32 v108, 16, v106
	v_fma_f16 v24, v19, v24, -v25
	v_fmac_f16_e32 v94, v19, v32
	v_fmac_f16_e32 v95, v20, v37
	;; [unrolled: 1-line block ×3, first 2 shown]
	v_lshrrev_b32_e32 v110, 16, v107
	v_fma_f16 v34, v21, v111, -v112
	v_fma_f16 v31, v23, v113, -v31
	v_lshrrev_b32_e32 v25, 16, v104
	v_fmac_f16_e32 v33, v21, v35
	v_fmac_f16_e32 v97, v23, v90
	;; [unrolled: 1-line block ×3, first 2 shown]
	v_sub_f16_e32 v18, v89, v26
	v_sub_f16_e32 v19, v108, v24
	;; [unrolled: 1-line block ×10, first 2 shown]
	v_fma_f16 v31, v89, 2.0, -v18
	v_sub_f16_e32 v36, v104, v98
	v_sub_f16_e32 v89, v33, v97
	v_fma_f16 v32, v108, 2.0, -v19
	v_fma_f16 v90, v96, 2.0, -v24
	v_add_f16_e32 v18, v26, v18
	v_sub_f16_e32 v24, v19, v24
	v_fma_f16 v94, v106, 2.0, -v26
	v_fma_f16 v27, v27, 2.0, -v20
	;; [unrolled: 1-line block ×5, first 2 shown]
	v_add_f16_e32 v20, v35, v20
	v_sub_f16_e32 v37, v21, v37
	v_fma_f16 v34, v34, 2.0, -v22
	v_fma_f16 v25, v25, 2.0, -v23
	;; [unrolled: 1-line block ×4, first 2 shown]
	v_sub_f16_e32 v31, v32, v31
	v_sub_f16_e32 v90, v94, v90
	v_pack_b32_f16 v98, v18, v24
	v_fma_f16 v18, v26, 2.0, -v18
	v_fma_f16 v19, v19, 2.0, -v24
	v_add_f16_e32 v22, v36, v22
	v_sub_f16_e32 v27, v75, v27
	v_fma_f16 v24, v35, 2.0, -v20
	v_fma_f16 v21, v21, 2.0, -v37
	v_sub_f16_e32 v35, v95, v97
	v_sub_f16_e32 v89, v23, v89
	;; [unrolled: 1-line block ×4, first 2 shown]
	v_fma_f16 v32, v32, 2.0, -v31
	v_pack_b32_f16 v18, v18, v19
	v_fma_f16 v19, v94, 2.0, -v90
	v_fma_f16 v26, v36, 2.0, -v22
	;; [unrolled: 1-line block ×3, first 2 shown]
	v_pack_b32_f16 v21, v24, v21
	v_fma_f16 v24, v95, 2.0, -v35
	v_fma_f16 v23, v23, 2.0, -v89
	;; [unrolled: 1-line block ×3, first 2 shown]
	v_pack_b32_f16 v27, v35, v27
	v_fma_f16 v35, v96, 2.0, -v33
	v_pack_b32_f16 v31, v90, v31
	v_pack_b32_f16 v19, v19, v32
	;; [unrolled: 1-line block ×8, first 2 shown]
	ds_store_2addr_b32 v91, v31, v98 offset0:12 offset1:18
	ds_store_2addr_b32 v91, v19, v18 offset1:6
	ds_store_2addr_b32 v93, v24, v21 offset1:6
	ds_store_2addr_b32 v93, v27, v20 offset0:12 offset1:18
	ds_store_2addr_b32 v92, v25, v23 offset1:6
	ds_store_2addr_b32 v92, v26, v22 offset0:12 offset1:18
	v_mov_b32_e32 v31, v103
	global_wb scope:SCOPE_SE
	s_wait_dscnt 0x0
	s_barrier_signal -1
	s_barrier_wait -1
	global_inv scope:SCOPE_SE
	ds_load_2addr_b32 v[20:21], v50 offset0:64 offset1:96
	ds_load_2addr_b32 v[26:27], v50 offset0:192 offset1:224
	ds_load_2addr_b32 v[24:25], v65 offset1:32
	v_lshlrev_b64_e32 v[32:33], 2, v[28:29]
	ds_load_2addr_b32 v[28:29], v50 offset0:128 offset1:160
	v_lshlrev_b64_e32 v[18:19], 2, v[30:31]
	ds_load_2addr_b32 v[30:31], v65 offset0:64 offset1:96
	ds_load_2addr_b32 v[22:23], v50 offset1:32
	global_wb scope:SCOPE_SE
	s_wait_dscnt 0x0
	s_barrier_signal -1
	s_barrier_wait -1
	global_inv scope:SCOPE_SE
	v_add_co_u32 v32, vcc_lo, s0, v32
	s_wait_alu 0xfffd
	v_add_co_ci_u32_e32 v33, vcc_lo, s1, v33, vcc_lo
	s_mov_b32 s0, 0x55555555
	s_mov_b32 s1, 0x3f655555
	v_lshrrev_b32_e32 v34, 16, v21
	v_lshrrev_b32_e32 v35, 16, v26
	v_mul_f16_e32 v36, v88, v21
	v_lshrrev_b32_e32 v37, 16, v25
	v_mul_f16_e32 v75, v87, v26
	v_lshrrev_b32_e32 v90, 16, v27
	v_lshrrev_b32_e32 v91, 16, v28
	v_lshrrev_b32_e32 v94, 16, v30
	v_lshrrev_b32_e32 v96, 16, v29
	v_lshrrev_b32_e32 v99, 16, v24
	v_lshrrev_b32_e32 v101, 16, v31
	v_mul_f16_e32 v89, v83, v25
	v_mul_f16_e32 v88, v88, v34
	v_fma_f16 v34, v15, v34, -v36
	v_mul_f16_e32 v36, v87, v35
	v_fma_f16 v35, v16, v35, -v75
	v_mul_f16_e32 v75, v83, v37
	v_mul_f16_e32 v92, v84, v28
	;; [unrolled: 1-line block ×13, first 2 shown]
	v_lshrrev_b32_e32 v97, 16, v22
	v_fma_f16 v37, v17, v37, -v89
	v_fmac_f16_e32 v88, v15, v21
	v_fmac_f16_e32 v36, v16, v26
	;; [unrolled: 1-line block ×3, first 2 shown]
	v_lshrrev_b32_e32 v103, 16, v23
	v_fma_f16 v85, v12, v91, -v92
	v_fma_f16 v87, v13, v90, -v93
	;; [unrolled: 1-line block ×3, first 2 shown]
	v_fmac_f16_e32 v83, v13, v27
	v_fmac_f16_e32 v84, v12, v28
	;; [unrolled: 1-line block ×3, first 2 shown]
	v_lshrrev_b32_e32 v104, 16, v20
	v_fma_f16 v90, v9, v96, -v98
	v_fma_f16 v91, v10, v99, -v100
	;; [unrolled: 1-line block ×3, first 2 shown]
	v_fmac_f16_e32 v82, v9, v29
	v_fmac_f16_e32 v80, v10, v24
	;; [unrolled: 1-line block ×3, first 2 shown]
	v_sub_f16_e32 v9, v97, v35
	v_sub_f16_e32 v10, v34, v37
	;; [unrolled: 1-line block ×12, first 2 shown]
	v_fma_f16 v16, v97, 2.0, -v9
	v_fma_f16 v21, v34, 2.0, -v10
	;; [unrolled: 1-line block ×12, first 2 shown]
	v_sub_f16_e32 v21, v16, v21
	v_add_f16_e32 v10, v15, v10
	v_sub_f16_e32 v17, v9, v17
	v_sub_f16_e32 v34, v22, v34
	;; [unrolled: 1-line block ×3, first 2 shown]
	v_add_f16_e32 v12, v24, v12
	v_sub_f16_e32 v26, v11, v26
	v_sub_f16_e32 v35, v23, v35
	;; [unrolled: 1-line block ×4, first 2 shown]
	v_add_f16_e32 v14, v28, v14
	v_sub_f16_e32 v30, v13, v30
	v_fma_f16 v16, v16, 2.0, -v21
	v_fma_f16 v15, v15, 2.0, -v10
	;; [unrolled: 1-line block ×3, first 2 shown]
	v_pack_b32_f16 v10, v10, v17
	v_fma_f16 v17, v22, 2.0, -v34
	v_fma_f16 v25, v25, 2.0, -v27
	;; [unrolled: 1-line block ×9, first 2 shown]
	v_pack_b32_f16 v16, v17, v16
	v_pack_b32_f16 v9, v15, v9
	;; [unrolled: 1-line block ×11, first 2 shown]
	ds_store_b32 v79, v16
	ds_store_2addr_b32 v76, v9, v15 offset0:24 offset1:48
	ds_store_b32 v76, v10 offset:288
	ds_store_2addr_b32 v78, v22, v11 offset1:24
	ds_store_2addr_b32 v78, v21, v12 offset0:48 offset1:72
	ds_store_2addr_b32 v77, v20, v13 offset1:24
	ds_store_2addr_b32 v77, v17, v14 offset0:48 offset1:72
	global_wb scope:SCOPE_SE
	s_wait_dscnt 0x0
	s_barrier_signal -1
	s_barrier_wait -1
	global_inv scope:SCOPE_SE
	ds_load_2addr_b32 v[20:21], v50 offset1:32
	ds_load_2addr_b32 v[15:16], v50 offset0:64 offset1:96
	ds_load_2addr_b32 v[28:29], v50 offset0:192 offset1:224
	ds_load_2addr_b32 v[22:23], v65 offset1:32
	ds_load_2addr_b32 v[26:27], v50 offset0:128 offset1:160
	ds_load_2addr_b32 v[24:25], v65 offset0:64 offset1:96
	v_add_co_u32 v9, vcc_lo, v32, v18
	s_wait_alu 0xfffd
	v_add_co_ci_u32_e32 v10, vcc_lo, v33, v19, vcc_lo
	v_add_nc_u32_e32 v17, 0x200, v51
	s_delay_alu instid0(VALU_DEP_3) | instskip(SKIP_1) | instid1(VALU_DEP_3)
	v_add_co_u32 v11, vcc_lo, v9, s50
	s_wait_alu 0xfffd
	v_add_co_ci_u32_e32 v12, vcc_lo, s51, v10, vcc_lo
	s_delay_alu instid0(VALU_DEP_2) | instskip(SKIP_1) | instid1(VALU_DEP_2)
	v_add_co_u32 v13, vcc_lo, v11, s50
	s_wait_alu 0xfffd
	v_add_co_ci_u32_e32 v14, vcc_lo, s51, v12, vcc_lo
	s_wait_dscnt 0x5
	v_lshrrev_b32_e32 v18, 16, v20
	s_wait_dscnt 0x4
	v_lshrrev_b32_e32 v19, 16, v16
	;; [unrolled: 2-line block ×5, first 2 shown]
	v_lshrrev_b32_e32 v34, 16, v29
	s_wait_dscnt 0x0
	v_lshrrev_b32_e32 v35, 16, v24
	v_mul_f16_e32 v77, v71, v28
	v_lshrrev_b32_e32 v37, 16, v27
	v_lshrrev_b32_e32 v65, 16, v22
	;; [unrolled: 1-line block ×3, first 2 shown]
	v_mul_f16_e32 v76, v74, v16
	v_mul_f16_e32 v78, v72, v23
	;; [unrolled: 1-line block ×8, first 2 shown]
	v_fma_f16 v30, v1, v30, -v77
	v_mul_f16_e32 v69, v69, v33
	v_mul_f16_e32 v68, v68, v34
	;; [unrolled: 1-line block ×6, first 2 shown]
	v_fma_f16 v19, v0, v19, -v76
	v_fma_f16 v31, v2, v31, -v78
	v_mul_f16_e32 v66, v66, v37
	v_mul_f16_e32 v67, v67, v65
	;; [unrolled: 1-line block ×3, first 2 shown]
	v_fmac_f16_e32 v74, v0, v16
	v_fmac_f16_e32 v71, v1, v28
	;; [unrolled: 1-line block ×3, first 2 shown]
	v_lshrrev_b32_e32 v32, 16, v21
	v_fma_f16 v33, v3, v33, -v79
	v_fma_f16 v34, v4, v34, -v80
	;; [unrolled: 1-line block ×3, first 2 shown]
	v_fmac_f16_e32 v69, v3, v26
	v_fmac_f16_e32 v68, v4, v29
	;; [unrolled: 1-line block ×3, first 2 shown]
	v_sub_f16_e32 v0, v18, v30
	v_lshrrev_b32_e32 v36, 16, v15
	v_fma_f16 v37, v6, v37, -v82
	v_fma_f16 v65, v7, v65, -v83
	v_fma_f16 v75, v8, v75, -v84
	v_fmac_f16_e32 v66, v6, v27
	v_fmac_f16_e32 v67, v7, v22
	;; [unrolled: 1-line block ×3, first 2 shown]
	v_sub_f16_e32 v1, v19, v31
	v_sub_f16_e32 v6, v20, v71
	;; [unrolled: 1-line block ×5, first 2 shown]
	v_fma_f16 v7, v18, 2.0, -v0
	v_sub_f16_e32 v18, v21, v68
	v_sub_f16_e32 v22, v69, v70
	;; [unrolled: 1-line block ×4, first 2 shown]
	v_fma_f16 v16, v19, 2.0, -v1
	v_sub_f16_e32 v24, v15, v67
	v_sub_f16_e32 v26, v66, v73
	v_fma_f16 v20, v20, 2.0, -v6
	v_fma_f16 v28, v74, 2.0, -v8
	;; [unrolled: 1-line block ×8, first 2 shown]
	v_sub_f16_e32 v16, v7, v16
	v_add_f16_e32 v1, v6, v1
	v_sub_f16_e32 v8, v0, v8
	v_fma_f16 v15, v15, 2.0, -v24
	v_fma_f16 v30, v66, 2.0, -v26
	v_sub_f16_e32 v28, v20, v28
	v_sub_f16_e32 v23, v19, v23
	v_add_f16_e32 v3, v18, v3
	v_sub_f16_e32 v22, v2, v22
	v_sub_f16_e32 v29, v21, v29
	v_sub_f16_e32 v27, v25, v27
	v_add_f16_e32 v5, v24, v5
	v_sub_f16_e32 v26, v4, v26
	v_fma_f16 v7, v7, 2.0, -v16
	v_fma_f16 v6, v6, 2.0, -v1
	;; [unrolled: 1-line block ×3, first 2 shown]
	v_sub_f16_e32 v30, v15, v30
	v_pack_b32_f16 v1, v1, v8
	v_fma_f16 v8, v20, 2.0, -v28
	v_fma_f16 v19, v19, 2.0, -v23
	;; [unrolled: 1-line block ×9, first 2 shown]
	v_pack_b32_f16 v0, v6, v0
	v_pack_b32_f16 v6, v28, v16
	;; [unrolled: 1-line block ×10, first 2 shown]
	ds_store_2addr_b32 v50, v0, v6 offset0:96 offset1:192
	v_pack_b32_f16 v0, v15, v25
	ds_store_b32 v50, v7
	ds_store_b32 v51, v1 offset:1152
	ds_store_b32 v50, v18 offset:128
	;; [unrolled: 1-line block ×6, first 2 shown]
	ds_store_2addr_b32 v17, v4, v8 offset0:32 offset1:128
	ds_store_b32 v51, v5 offset:1408
	global_wb scope:SCOPE_SE
	s_wait_dscnt 0x0
	s_barrier_signal -1
	s_barrier_wait -1
	global_inv scope:SCOPE_SE
	ds_load_2addr_b32 v[6:7], v50 offset1:32
	ds_load_2addr_b32 v[15:16], v50 offset0:64 offset1:96
	ds_load_2addr_b32 v[17:18], v51 offset0:128 offset1:160
	;; [unrolled: 1-line block ×3, first 2 shown]
	ds_load_2addr_b32 v[21:22], v52 offset1:32
	ds_load_2addr_b32 v[23:24], v52 offset0:64 offset1:96
	v_add_co_u32 v0, vcc_lo, v13, s50
	s_wait_alu 0xfffd
	v_add_co_ci_u32_e32 v1, vcc_lo, s51, v14, vcc_lo
	s_delay_alu instid0(VALU_DEP_2) | instskip(SKIP_1) | instid1(VALU_DEP_2)
	v_add_co_u32 v2, vcc_lo, v0, s50
	s_wait_alu 0xfffd
	v_add_co_ci_u32_e32 v3, vcc_lo, s51, v1, vcc_lo
	s_delay_alu instid0(VALU_DEP_2) | instskip(SKIP_1) | instid1(VALU_DEP_2)
	v_add_co_u32 v4, vcc_lo, v2, s50
	s_wait_alu 0xfffd
	v_add_co_ci_u32_e32 v5, vcc_lo, s51, v3, vcc_lo
	s_wait_dscnt 0x5
	v_lshrrev_b32_e32 v8, 16, v6
	s_wait_dscnt 0x4
	v_lshrrev_b32_e32 v25, 16, v15
	v_mul_f16_e32 v26, v64, v15
	s_wait_dscnt 0x3
	v_lshrrev_b32_e32 v27, 16, v17
	v_mul_f16_e32 v28, v62, v17
	;; [unrolled: 3-line block ×3, first 2 shown]
	v_lshrrev_b32_e32 v35, 16, v7
	v_mul_f16_e32 v64, v64, v25
	v_fma_f16 v25, v46, v25, -v26
	s_wait_dscnt 0x1
	v_lshrrev_b32_e32 v31, 16, v21
	v_mul_f16_e32 v32, v54, v21
	s_wait_dscnt 0x0
	v_lshrrev_b32_e32 v33, 16, v23
	v_mul_f16_e32 v34, v55, v23
	v_mul_f16_e32 v36, v56, v7
	v_lshrrev_b32_e32 v37, 16, v16
	v_mul_f16_e32 v50, v57, v16
	v_lshrrev_b32_e32 v51, 16, v18
	;; [unrolled: 2-line block ×5, first 2 shown]
	v_mul_f16_e32 v70, v61, v24
	v_mul_f16_e32 v71, v63, v6
	v_mul_f16_e32 v63, v63, v8
	v_mul_f16_e32 v62, v62, v27
	v_fma_f16 v26, v45, v27, -v28
	v_fma_f16 v27, v43, v29, -v30
	v_mul_f16_e32 v56, v56, v35
	v_cvt_f32_f16_e32 v25, v25
	v_fma_f16 v28, v38, v31, -v32
	v_fma_f16 v30, v49, v33, -v34
	;; [unrolled: 1-line block ×9, first 2 shown]
	v_mul_f16_e32 v53, v53, v29
	v_mul_f16_e32 v37, v57, v37
	;; [unrolled: 1-line block ×3, first 2 shown]
	v_cvt_f32_f16_e32 v26, v26
	v_cvt_f32_f16_e32 v27, v27
	v_fmac_f16_e32 v63, v41, v6
	v_fmac_f16_e32 v56, v44, v7
	v_cvt_f64_f32_e32 v[6:7], v25
	v_mul_f16_e32 v54, v54, v31
	v_mul_f16_e32 v55, v55, v33
	;; [unrolled: 1-line block ×5, first 2 shown]
	v_cvt_f32_f16_e32 v28, v28
	v_cvt_f32_f16_e32 v29, v30
	;; [unrolled: 1-line block ×5, first 2 shown]
	v_fmac_f16_e32 v64, v46, v15
	v_cvt_f32_f16_e32 v33, v50
	v_fmac_f16_e32 v62, v45, v17
	v_cvt_f32_f16_e32 v34, v52
	v_cvt_f32_f16_e32 v35, v66
	;; [unrolled: 1-line block ×3, first 2 shown]
	v_fmac_f16_e32 v53, v43, v19
	v_fmac_f16_e32 v37, v42, v16
	v_fmac_f16_e32 v51, v40, v18
	v_cvt_f64_f32_e32 v[15:16], v26
	v_cvt_f64_f32_e32 v[17:18], v27
	v_fmac_f16_e32 v54, v38, v21
	v_fmac_f16_e32 v55, v49, v23
	;; [unrolled: 1-line block ×5, first 2 shown]
	v_cvt_f64_f32_e32 v[19:20], v28
	v_cvt_f64_f32_e32 v[21:22], v29
	;; [unrolled: 1-line block ×6, first 2 shown]
	v_cvt_f32_f16_e32 v38, v63
	v_cvt_f64_f32_e32 v[31:32], v34
	v_cvt_f32_f16_e32 v39, v64
	v_cvt_f32_f16_e32 v41, v62
	v_cvt_f64_f32_e32 v[33:34], v35
	v_cvt_f64_f32_e32 v[35:36], v8
	v_cvt_f32_f16_e32 v8, v53
	v_cvt_f32_f16_e32 v45, v54
	v_cvt_f32_f16_e32 v52, v37
	v_cvt_f64_f32_e32 v[37:38], v38
	v_cvt_f64_f32_e32 v[39:40], v39
	;; [unrolled: 1-line block ×4, first 2 shown]
	v_cvt_f32_f16_e32 v47, v55
	v_cvt_f32_f16_e32 v49, v56
	;; [unrolled: 1-line block ×5, first 2 shown]
	v_cvt_f64_f32_e32 v[45:46], v45
	v_cvt_f64_f32_e32 v[47:48], v47
	;; [unrolled: 1-line block ×7, first 2 shown]
	v_cvt_f32_f16_e32 v59, v59
	s_wait_alu 0xfffe
	v_mul_f64_e32 v[61:62], s[0:1], v[6:7]
	v_mul_f64_e32 v[63:64], s[0:1], v[15:16]
	;; [unrolled: 1-line block ×3, first 2 shown]
	v_mad_co_u64_u32 v[6:7], null, 0xfffffb80, s4, v[4:5]
	v_cvt_f64_f32_e32 v[59:60], v59
	v_mul_f64_e32 v[19:20], s[0:1], v[19:20]
	v_mul_f64_e32 v[21:22], s[0:1], v[21:22]
	v_mul_f64_e32 v[65:66], s[0:1], v[23:24]
	v_mul_f64_e32 v[67:68], s[0:1], v[25:26]
	v_mul_f64_e32 v[27:28], s[0:1], v[27:28]
	v_mul_f64_e32 v[29:30], s[0:1], v[29:30]
	v_add_nc_u32_e32 v7, s2, v7
	v_mul_f64_e32 v[31:32], s[0:1], v[31:32]
	v_add_co_u32 v15, vcc_lo, v6, s50
	v_mul_f64_e32 v[33:34], s[0:1], v[33:34]
	v_mul_f64_e32 v[23:24], s[0:1], v[35:36]
	s_wait_alu 0xfffd
	v_add_co_ci_u32_e32 v16, vcc_lo, s51, v7, vcc_lo
	v_mul_f64_e32 v[35:36], s[0:1], v[37:38]
	v_mul_f64_e32 v[37:38], s[0:1], v[39:40]
	;; [unrolled: 1-line block ×11, first 2 shown]
	v_lshrrev_b32_e32 v26, 16, v62
	v_and_or_b32 v70, 0x1ff, v64, v63
	v_and_or_b32 v63, 0x1ff, v18, v17
	v_lshrrev_b32_e32 v71, 8, v18
	v_bfe_u32 v77, v18, 20, 11
	v_mul_f64_e32 v[57:58], s[0:1], v[59:60]
	v_and_or_b32 v59, 0x1ff, v62, v61
	v_and_or_b32 v69, 0x1ff, v20, v19
	;; [unrolled: 1-line block ×5, first 2 shown]
	v_cmp_ne_u32_e32 vcc_lo, 0, v59
	v_lshrrev_b32_e32 v60, 8, v62
	v_and_or_b32 v90, 0x1ff, v32, v31
	v_lshrrev_b32_e32 v91, 8, v32
	v_bfe_u32 v92, v32, 20, 11
	s_wait_alu 0xfffd
	v_cndmask_b32_e64 v59, 0, 1, vcc_lo
	v_cmp_ne_u32_e32 vcc_lo, 0, v63
	v_lshrrev_b32_e32 v17, 16, v32
	v_and_or_b32 v93, 0x1ff, v34, v33
	v_lshrrev_b32_e32 v94, 8, v34
	v_bfe_u32 v95, v34, 20, 11
	v_lshrrev_b32_e32 v8, 16, v34
	v_and_or_b32 v102, 0x1ff, v38, v37
	v_and_or_b32 v41, 0x1ff, v42, v41
	v_lshrrev_b32_e32 v110, 8, v42
	v_bfe_u32 v111, v42, 20, 11
	v_lshrrev_b32_e32 v31, 16, v42
	s_wait_alu 0xfffd
	v_cndmask_b32_e64 v42, 0, 1, vcc_lo
	v_cmp_ne_u32_e32 vcc_lo, 0, v69
	v_and_or_b32 v43, 0x1ff, v44, v43
	v_lshrrev_b32_e32 v112, 8, v44
	v_bfe_u32 v113, v44, 20, 11
	v_lshrrev_b32_e32 v32, 16, v44
	s_wait_alu 0xfffd
	v_cndmask_b32_e64 v44, 0, 1, vcc_lo
	v_cmp_ne_u32_e32 vcc_lo, 0, v70
	v_and_or_b32 v47, 0x1ff, v48, v47
	v_lshrrev_b32_e32 v116, 8, v48
	v_bfe_u32 v117, v48, 20, 11
	v_lshrrev_b32_e32 v34, 16, v48
	v_and_or_b32 v48, 0x1ff, v56, v55
	s_wait_alu 0xfffd
	v_cndmask_b32_e64 v55, 0, 1, vcc_lo
	v_cmp_ne_u32_e32 vcc_lo, 0, v73
	v_and_or_b32 v45, 0x1ff, v46, v45
	v_lshrrev_b32_e32 v114, 8, v46
	v_bfe_u32 v115, v46, 20, 11
	v_and_or_b32 v53, 0x1ff, v54, v53
	v_lshrrev_b32_e32 v33, 16, v46
	v_lshrrev_b32_e32 v46, 8, v54
	v_bfe_u32 v122, v54, 20, 11
	v_lshrrev_b32_e32 v37, 16, v54
	s_wait_alu 0xfffd
	v_cndmask_b32_e64 v54, 0, 1, vcc_lo
	v_cmp_ne_u32_e32 vcc_lo, 0, v65
	v_bfe_u32 v61, v62, 20, 11
	v_and_or_b32 v84, 0x1ff, v28, v27
	v_and_or_b32 v87, 0x1ff, v30, v29
	;; [unrolled: 1-line block ×3, first 2 shown]
	v_lshrrev_b32_e32 v106, 8, v38
	v_bfe_u32 v107, v38, 20, 11
	v_and_or_b32 v49, 0x1ff, v50, v49
	v_lshrrev_b32_e32 v118, 8, v50
	v_bfe_u32 v119, v50, 20, 11
	v_lshrrev_b32_e32 v29, 16, v38
	v_lshrrev_b32_e32 v35, 16, v50
	;; [unrolled: 1-line block ×3, first 2 shown]
	v_bfe_u32 v123, v56, 20, 11
	v_lshrrev_b32_e32 v38, 16, v56
	s_wait_alu 0xfffd
	v_cndmask_b32_e64 v56, 0, 1, vcc_lo
	v_cmp_ne_u32_e32 vcc_lo, 0, v67
	v_lshrrev_b32_e32 v80, 8, v66
	v_bfe_u32 v81, v66, 20, 11
	v_lshrrev_b32_e32 v82, 8, v68
	v_lshrrev_b32_e32 v21, 16, v66
	v_sub_nc_u32_e32 v66, 0x3f1, v61
	v_and_or_b32 v69, 0xffe, v60, v59
	s_wait_alu 0xfffd
	v_cndmask_b32_e64 v59, 0, 1, vcc_lo
	v_cmp_ne_u32_e32 vcc_lo, 0, v84
	v_lshrrev_b32_e32 v72, 8, v20
	v_med3_i32 v70, v66, 0, 13
	v_bfe_u32 v78, v20, 20, 11
	v_and_or_b32 v66, 0xffe, v82, v59
	s_wait_alu 0xfffd
	v_cndmask_b32_e64 v60, 0, 1, vcc_lo
	v_or_b32_e32 v59, 0x1000, v69
	v_cmp_ne_u32_e32 vcc_lo, 0, v87
	v_bfe_u32 v83, v68, 20, 11
	v_and_or_b32 v96, 0x1ff, v24, v23
	v_lshrrev_b32_e32 v23, 16, v20
	v_lshrrev_b32_e32 v20, 16, v68
	v_sub_nc_u32_e32 v68, 0x3f1, v77
	v_and_or_b32 v62, 0xffe, v71, v42
	v_and_or_b32 v65, 0xffe, v80, v56
	s_wait_alu 0xfffd
	v_cndmask_b32_e64 v71, 0, 1, vcc_lo
	v_cmp_ne_u32_e32 vcc_lo, 0, v90
	v_lshrrev_b32_e32 v80, v70, v59
	v_lshrrev_b32_e32 v74, 8, v22
	v_bfe_u32 v79, v22, 20, 11
	v_lshrrev_b32_e32 v85, 8, v28
	v_sub_nc_u32_e32 v104, 0x3f1, v78
	v_and_or_b32 v63, 0xffe, v72, v44
	s_wait_alu 0xfffd
	v_cndmask_b32_e64 v72, 0, 1, vcc_lo
	v_cmp_ne_u32_e32 vcc_lo, 0, v93
	v_med3_i32 v73, v68, 0, 13
	v_lshlrev_b32_e32 v70, v70, v80
	v_or_b32_e32 v82, 0x1000, v62
	v_lshrrev_b32_e32 v75, 8, v64
	v_bfe_u32 v76, v64, 20, 11
	v_lshrrev_b32_e32 v88, 8, v30
	v_lshrrev_b32_e32 v25, 16, v64
	v_sub_nc_u32_e32 v105, 0x3f1, v79
	v_and_or_b32 v64, 0xffe, v74, v54
	v_and_or_b32 v67, 0xffe, v85, v60
	s_wait_alu 0xfffd
	v_cndmask_b32_e64 v60, 0, 1, vcc_lo
	v_med3_i32 v74, v104, 0, 13
	v_cmp_ne_u32_e32 vcc_lo, v70, v59
	v_or_b32_e32 v59, 0x1000, v63
	v_lshrrev_b32_e32 v85, v73, v82
	v_and_or_b32 v68, 0xffe, v88, v71
	v_med3_i32 v84, v105, 0, 13
	v_and_or_b32 v70, 0xffe, v91, v72
	v_lshrrev_b32_e32 v87, v74, v59
	v_lshlrev_b32_e32 v72, v73, v85
	v_and_or_b32 v71, 0xffe, v94, v60
	v_or_b32_e32 v60, 0x1000, v64
	v_bfe_u32 v86, v28, 20, 11
	v_lshrrev_b32_e32 v19, 16, v28
	v_lshrrev_b32_e32 v100, 8, v36
	v_bfe_u32 v101, v36, 20, 11
	v_lshrrev_b32_e32 v28, 16, v36
	v_and_or_b32 v51, 0x1ff, v52, v51
	v_lshrrev_b32_e32 v120, 8, v52
	v_bfe_u32 v121, v52, 20, 11
	v_lshrrev_b32_e32 v36, 16, v52
	v_sub_nc_u32_e32 v52, 0x3f1, v83
	v_lshlrev_b32_e32 v73, v74, v87
	v_cmp_ne_u32_e64 s0, v72, v82
	v_lshrrev_b32_e32 v82, v84, v60
	v_bfe_u32 v89, v30, 20, 11
	v_lshrrev_b32_e32 v97, 8, v24
	v_bfe_u32 v98, v24, 20, 11
	v_lshrrev_b32_e32 v27, 16, v24
	v_lshrrev_b32_e32 v24, 16, v18
	v_lshrrev_b32_e32 v18, 16, v30
	v_and_or_b32 v39, 0x1ff, v40, v39
	v_lshrrev_b32_e32 v108, 8, v40
	v_bfe_u32 v109, v40, 20, 11
	v_lshrrev_b32_e32 v30, 16, v40
	v_sub_nc_u32_e32 v40, 0x3f1, v81
	v_med3_i32 v52, v52, 0, 13
	v_cmp_ne_u32_e64 s1, v73, v59
	v_lshlrev_b32_e32 v59, v84, v82
	v_or_b32_e32 v84, 0x1000, v66
	v_sub_nc_u32_e32 v44, 0x3f1, v89
	v_med3_i32 v40, v40, 0, 13
	v_or_b32_e32 v72, 0x1000, v65
	v_sub_nc_u32_e32 v42, 0x3f1, v86
	v_lshrrev_b32_e32 v90, v52, v84
	v_med3_i32 v44, v44, 0, 13
	v_or_b32_e32 v93, 0x1000, v68
	v_lshrrev_b32_e32 v88, v40, v72
	v_cmp_ne_u32_e64 s4, 0, v39
	v_lshlrev_b32_e32 v52, v52, v90
	v_sub_nc_u32_e32 v56, 0x3f1, v95
	v_med3_i32 v42, v42, 0, 13
	v_cmp_ne_u32_e64 s2, 0, v99
	v_lshlrev_b32_e32 v40, v40, v88
	v_cmp_ne_u32_e64 s3, 0, v102
	v_or_b32_e32 v91, 0x1000, v67
	s_wait_alu 0xf1ff
	v_cndmask_b32_e64 v39, 0, 1, s4
	v_cmp_ne_u32_e64 s4, v52, v84
	v_lshrrev_b32_e32 v84, v44, v93
	v_sub_nc_u32_e32 v54, 0x3f1, v92
	v_med3_i32 v56, v56, 0, 13
	v_cndmask_b32_e64 v73, 0, 1, s2
	v_cmp_ne_u32_e64 s2, v59, v60
	v_cndmask_b32_e64 v60, 0, 1, s3
	v_cmp_ne_u32_e64 s3, v40, v72
	v_lshrrev_b32_e32 v94, v42, v91
	v_and_or_b32 v72, 0xffe, v108, v39
	v_or_b32_e32 v39, 0x1000, v71
	v_lshlrev_b32_e32 v44, v44, v84
	v_med3_i32 v54, v54, 0, 13
	v_lshlrev_b32_e32 v42, v42, v94
	v_or_b32_e32 v52, 0x1000, v70
	v_sub_nc_u32_e32 v59, 0x3f1, v101
	v_cmp_ne_u32_e64 s6, v44, v93
	v_lshrrev_b32_e32 v93, v56, v39
	v_sub_nc_u32_e32 v40, 0x3f1, v107
	v_and_or_b32 v73, 0xffe, v100, v73
	v_and_or_b32 v74, 0xffe, v106, v60
	v_cmp_ne_u32_e64 s5, v42, v91
	v_lshrrev_b32_e32 v91, v54, v52
	v_cmp_ne_u32_e64 s7, 0, v41
	v_lshlrev_b32_e32 v56, v56, v93
	v_sub_nc_u32_e32 v42, 0x3f1, v109
	v_med3_i32 v59, v59, 0, 13
	v_lshlrev_b32_e32 v44, v54, v91
	v_or_b32_e32 v54, 0x1000, v73
	s_wait_alu 0xf1ff
	v_cndmask_b32_e64 v41, 0, 1, s7
	v_med3_i32 v40, v40, 0, 13
	v_cmp_ne_u32_e64 s8, v56, v39
	v_or_b32_e32 v39, 0x1000, v74
	v_cmp_ne_u32_e64 s9, 0, v43
	v_cmp_ne_u32_e64 s7, v44, v52
	v_lshrrev_b32_e32 v99, v59, v54
	v_sub_nc_u32_e32 v44, 0x3f1, v111
	v_med3_i32 v42, v42, 0, 13
	v_cndmask_b32_e64 v43, 0, 1, s9
	v_or_b32_e32 v56, 0x1000, v72
	v_lshrrev_b32_e32 v100, v40, v39
	v_and_or_b32 v102, 0xffe, v110, v41
	v_lshlrev_b32_e32 v52, v59, v99
	v_med3_i32 v41, v44, 0, 13
	v_lshrrev_b32_e32 v104, v42, v56
	v_lshlrev_b32_e32 v40, v40, v100
	v_and_or_b32 v105, 0xffe, v112, v43
	v_or_b32_e32 v43, 0x1000, v102
	v_cmp_ne_u32_e64 s11, 0, v45
	v_cmp_ne_u32_e64 s9, v52, v54
	v_sub_nc_u32_e32 v52, 0x3f1, v113
	v_lshlrev_b32_e32 v42, v42, v104
	v_cmp_ne_u32_e64 s10, v40, v39
	v_lshrrev_b32_e32 v106, v41, v43
	s_wait_alu 0xf1ff
	v_cndmask_b32_e64 v40, 0, 1, s11
	v_med3_i32 v44, v52, 0, 13
	v_or_b32_e32 v39, 0x1000, v105
	v_cmp_ne_u32_e64 s11, v42, v56
	v_sub_nc_u32_e32 v42, 0x3f1, v115
	v_lshlrev_b32_e32 v41, v41, v106
	v_and_or_b32 v110, 0xffe, v114, v40
	v_lshrrev_b32_e32 v108, v44, v39
	v_cmp_ne_u32_e64 s13, 0, v47
	v_med3_i32 v40, v42, 0, 13
	v_cmp_ne_u32_e64 s12, v41, v43
	v_or_b32_e32 v41, 0x1000, v110
	v_lshlrev_b32_e32 v42, v44, v108
	s_wait_alu 0xf1ff
	v_cndmask_b32_e64 v44, 0, 1, s13
	v_cmp_ne_u32_e64 s14, 0, v96
	v_sub_nc_u32_e32 v47, 0x3f1, v98
	v_lshrrev_b32_e32 v112, v40, v41
	v_cmp_ne_u32_e64 s13, v42, v39
	v_sub_nc_u32_e32 v42, 0x3f1, v117
	v_and_or_b32 v116, 0xffe, v116, v44
	s_wait_alu 0xf1ff
	v_cndmask_b32_e64 v56, 0, 1, s14
	v_lshlrev_b32_e32 v40, v40, v112
	v_add_nc_u32_e32 v96, 0xfffffc10, v98
	v_med3_i32 v44, v42, 0, 13
	v_add_nc_u32_e32 v98, 0xfffffc10, v61
	v_add_nc_u32_e32 v61, 0xfffffc10, v92
	v_cmp_ne_u32_e64 s14, v40, v41
	v_or_b32_e32 v41, 0x1000, v116
	v_and_or_b32 v92, 0xffe, v97, v56
	v_sub_nc_u32_e32 v103, 0x3f1, v76
	v_add_nc_u32_e32 v54, 0xfffffc10, v81
	v_add_nc_u32_e32 v60, 0xfffffc10, v83
	v_lshrrev_b32_e32 v124, v44, v41
	v_and_or_b32 v83, 0xffe, v75, v55
	v_med3_i32 v81, v47, 0, 13
	v_or_b32_e32 v97, 0x1000, v92
	v_add_nc_u32_e32 v55, 0xfffffc10, v101
	v_lshlrev_b32_e32 v52, v44, v124
	v_add_nc_u32_e32 v44, 0xfffffc10, v78
	v_med3_i32 v78, v103, 0, 13
	v_or_b32_e32 v101, 0x1000, v83
	v_lshrrev_b32_e32 v103, v81, v97
	v_add_nc_u32_e32 v56, 0xfffffc10, v107
	v_cmp_ne_u32_e64 s15, 0, v49
	v_add_nc_u32_e32 v42, 0xfffffc10, v76
	v_lshrrev_b32_e32 v107, v78, v101
	v_lshlrev_b32_e32 v81, v81, v103
	v_cmp_ne_u32_e64 s16, 0, v53
	s_wait_alu 0xf1ff
	v_cndmask_b32_e64 v49, 0, 1, s15
	v_cmp_ne_u32_e64 s15, 0, v51
	v_lshlrev_b32_e32 v78, v78, v107
	v_cmp_ne_u32_e64 s21, v81, v97
	s_wait_alu 0xfffd
	v_cndmask_b32_e64 v97, 0, 1, vcc_lo
	v_and_or_b32 v118, 0xffe, v118, v49
	v_sub_nc_u32_e32 v49, 0x3f1, v119
	v_cmp_ne_u32_e32 vcc_lo, v78, v101
	v_cndmask_b32_e64 v81, 0, 1, s21
	v_or_b32_e32 v80, v80, v97
	v_cndmask_b32_e64 v97, 0, 1, s1
	v_lshl_or_b32 v78, v96, 12, v92
	s_wait_alu 0xfffd
	v_cndmask_b32_e64 v101, 0, 1, vcc_lo
	v_or_b32_e32 v81, v103, v81
	v_cndmask_b32_e64 v103, 0, 1, s0
	v_or_b32_e32 v87, v87, v97
	v_cndmask_b32_e64 v97, 0, 1, s4
	;; [unrolled: 2-line block ×7, first 2 shown]
	v_cmp_gt_i32_e32 vcc_lo, 1, v96
	s_wait_alu 0xf1ff
	v_cndmask_b32_e64 v51, 0, 1, s15
	v_med3_i32 v49, v49, 0, 13
	v_cmp_ne_u32_e64 s15, v52, v41
	v_or_b32_e32 v41, 0x1000, v118
	v_or_b32_e32 v94, v94, v107
	v_cndmask_b32_e64 v107, 0, 1, s8
	v_or_b32_e32 v84, v84, v103
	v_cndmask_b32_e64 v103, 0, 1, s9
	v_or_b32_e32 v91, v91, v97
	v_lshl_or_b32 v97, v98, 12, v69
	s_wait_alu 0xfffd
	v_cndmask_b32_e32 v81, v78, v81, vcc_lo
	v_cmp_gt_i32_e32 vcc_lo, 1, v98
	v_add_nc_u32_e32 v40, 0xfffffc10, v77
	v_sub_nc_u32_e32 v52, 0x3f1, v121
	v_cndmask_b32_e64 v53, 0, 1, s16
	v_and_or_b32 v120, 0xffe, v120, v51
	v_lshrrev_b32_e32 v76, v49, v41
	v_or_b32_e32 v93, v93, v107
	v_cndmask_b32_e64 v107, 0, 1, s10
	v_or_b32_e32 v99, v99, v103
	v_lshl_or_b32 v103, v42, 12, v83
	s_wait_alu 0xfffd
	v_cndmask_b32_e32 v80, v97, v80, vcc_lo
	v_cmp_gt_i32_e32 vcc_lo, 1, v42
	v_med3_i32 v51, v52, 0, 13
	v_and_or_b32 v125, 0xffe, v46, v53
	v_lshlrev_b32_e32 v46, v49, v76
	v_or_b32_e32 v49, 0x1000, v120
	v_cndmask_b32_e64 v78, 0, 1, s11
	v_or_b32_e32 v100, v100, v107
	v_lshl_or_b32 v107, v40, 12, v62
	s_wait_alu 0xfffd
	v_cndmask_b32_e32 v101, v103, v101, vcc_lo
	v_cmp_gt_i32_e32 vcc_lo, 1, v40
	v_and_or_b32 v45, 0x1ff, v58, v57
	v_add_nc_u32_e32 v57, 0xfffffc10, v79
	v_lshrrev_b32_e32 v77, v51, v49
	v_cmp_ne_u32_e64 s17, 0, v48
	v_cndmask_b32_e64 v97, 0, 1, s12
	v_or_b32_e32 v78, v104, v78
	v_lshl_or_b32 v104, v44, 12, v63
	s_wait_alu 0xfffd
	v_cndmask_b32_e32 v85, v107, v85, vcc_lo
	v_cmp_gt_i32_e32 vcc_lo, 1, v44
	v_cmp_ne_u32_e64 s16, v46, v41
	v_sub_nc_u32_e32 v41, 0x3f1, v122
	v_lshlrev_b32_e32 v46, v51, v77
	s_wait_alu 0xf1ff
	v_cndmask_b32_e64 v48, 0, 1, s17
	v_cmp_ne_u32_e64 s18, 0, v45
	v_cndmask_b32_e64 v103, 0, 1, s13
	v_or_b32_e32 v97, v106, v97
	v_lshl_or_b32 v106, v57, 12, v64
	s_wait_alu 0xfffd
	v_cndmask_b32_e32 v87, v104, v87, vcc_lo
	v_cmp_gt_i32_e32 vcc_lo, 1, v57
	v_lshrrev_b32_e32 v43, 8, v58
	v_add_nc_u32_e32 v59, 0xfffffc10, v86
	v_med3_i32 v41, v41, 0, 13
	v_or_b32_e32 v51, 0x1000, v125
	v_cmp_ne_u32_e64 s17, v46, v49
	v_sub_nc_u32_e32 v46, 0x3f1, v123
	s_wait_alu 0xf1ff
	v_cndmask_b32_e64 v45, 0, 1, s18
	v_and_or_b32 v86, 0xffe, v50, v48
	v_or_b32_e32 v103, v108, v103
	v_lshl_or_b32 v108, v54, 12, v65
	s_wait_alu 0xfffd
	v_cndmask_b32_e32 v106, v106, v82, vcc_lo
	v_cmp_gt_i32_e32 vcc_lo, 1, v54
	v_bfe_u32 v114, v58, 20, 11
	v_lshrrev_b32_e32 v39, 16, v58
	v_add_nc_u32_e32 v58, 0xfffffc10, v89
	v_lshrrev_b32_e32 v75, v41, v51
	v_med3_i32 v46, v46, 0, 13
	v_and_or_b32 v89, 0xffe, v43, v45
	v_or_b32_e32 v43, 0x1000, v86
	v_lshl_or_b32 v104, v60, 12, v66
	s_wait_alu 0xfffd
	v_cndmask_b32_e32 v88, v108, v88, vcc_lo
	v_cmp_gt_i32_e32 vcc_lo, 1, v60
	v_sub_nc_u32_e32 v48, 0x3f1, v114
	v_lshlrev_b32_e32 v41, v41, v75
	v_lshrrev_b32_e32 v79, v46, v43
	v_cndmask_b32_e64 v82, 0, 1, s16
	v_lshl_or_b32 v108, v59, 12, v67
	s_wait_alu 0xfffd
	v_cndmask_b32_e32 v90, v104, v90, vcc_lo
	v_cmp_gt_i32_e32 vcc_lo, 1, v59
	v_med3_i32 v45, v48, 0, 13
	v_cmp_ne_u32_e64 s18, v41, v51
	v_or_b32_e32 v41, 0x1000, v89
	v_lshlrev_b32_e32 v46, v46, v79
	v_add_nc_u32_e32 v49, 0xfffffc10, v111
	v_cndmask_b32_e64 v111, 0, 1, s17
	v_or_b32_e32 v76, v76, v82
	v_lshl_or_b32 v82, v58, 12, v68
	s_wait_alu 0xfffd
	v_cndmask_b32_e32 v94, v108, v94, vcc_lo
	v_cmp_gt_i32_e32 vcc_lo, 1, v58
	v_add_nc_u32_e32 v52, 0xfffffc10, v95
	v_lshrrev_b32_e32 v95, v45, v41
	v_cmp_ne_u32_e64 s19, v46, v43
	s_wait_alu 0xf1ff
	v_cndmask_b32_e64 v104, 0, 1, s18
	v_or_b32_e32 v77, v77, v111
	v_lshl_or_b32 v111, v61, 12, v70
	s_wait_alu 0xfffd
	v_cndmask_b32_e32 v84, v82, v84, vcc_lo
	v_cmp_gt_i32_e32 vcc_lo, 1, v61
	v_lshlrev_b32_e32 v45, v45, v95
	v_cndmask_b32_e64 v108, 0, 1, s19
	v_or_b32_e32 v75, v75, v104
	v_lshl_or_b32 v104, v52, 12, v71
	s_wait_alu 0xfffd
	v_cndmask_b32_e32 v91, v111, v91, vcc_lo
	v_cmp_gt_i32_e32 vcc_lo, 1, v52
	v_cmp_ne_u32_e64 s20, v45, v41
	v_or_b32_e32 v79, v79, v108
	v_lshl_or_b32 v108, v55, 12, v73
	v_add_nc_u32_e32 v53, 0xfffffc10, v109
	s_wait_alu 0xfffd
	v_cndmask_b32_e32 v93, v104, v93, vcc_lo
	v_cmp_gt_i32_e32 vcc_lo, 1, v55
	s_wait_alu 0xf1ff
	v_cndmask_b32_e64 v82, 0, 1, s20
	v_lshl_or_b32 v111, v56, 12, v74
	v_add_nc_u32_e32 v51, 0xfffffc10, v113
	v_lshl_or_b32 v104, v49, 12, v102
	s_wait_alu 0xfffd
	v_cndmask_b32_e32 v99, v108, v99, vcc_lo
	v_cmp_gt_i32_e32 vcc_lo, 1, v56
	v_or_b32_e32 v82, v95, v82
	v_lshl_or_b32 v95, v53, 12, v72
	v_add_nc_u32_e32 v48, 0xfffffc10, v115
	v_cndmask_b32_e64 v107, 0, 1, s14
	s_wait_alu 0xfffd
	v_cndmask_b32_e32 v100, v111, v100, vcc_lo
	v_cmp_gt_i32_e32 vcc_lo, 1, v53
	v_lshl_or_b32 v108, v51, 12, v105
	v_add_nc_u32_e32 v50, 0xfffffc10, v117
	v_or_b32_e32 v107, v112, v107
	v_cndmask_b32_e64 v109, 0, 1, s15
	s_wait_alu 0xfffd
	v_cndmask_b32_e32 v95, v95, v78, vcc_lo
	v_cmp_gt_i32_e32 vcc_lo, 1, v49
	v_lshl_or_b32 v111, v48, 12, v110
	v_add_nc_u32_e32 v47, 0xfffffc10, v119
	v_or_b32_e32 v109, v124, v109
	v_lshl_or_b32 v78, v50, 12, v116
	s_wait_alu 0xfffd
	v_cndmask_b32_e32 v97, v104, v97, vcc_lo
	v_cmp_gt_i32_e32 vcc_lo, 1, v51
	v_add_nc_u32_e32 v46, 0xfffffc10, v121
	v_lshl_or_b32 v104, v47, 12, v118
	v_add_nc_u32_e32 v45, 0xfffffc10, v122
	v_add_nc_u32_e32 v43, 0xfffffc10, v123
	s_wait_alu 0xfffd
	v_cndmask_b32_e32 v103, v108, v103, vcc_lo
	v_cmp_gt_i32_e32 vcc_lo, 1, v48
	v_lshl_or_b32 v108, v46, 12, v120
	v_add_nc_u32_e32 v41, 0xfffffc10, v114
	v_cmp_ne_u32_e64 s40, 0, v92
	v_lshrrev_b32_e32 v22, 16, v22
	s_wait_alu 0xfffd
	v_cndmask_b32_e32 v107, v111, v107, vcc_lo
	v_cmp_gt_i32_e32 vcc_lo, 1, v50
	v_lshl_or_b32 v111, v45, 12, v125
	s_wait_alu 0xfffd
	v_cndmask_b32_e32 v109, v78, v109, vcc_lo
	v_cmp_gt_i32_e32 vcc_lo, 1, v47
	v_lshl_or_b32 v78, v43, 12, v86
	;; [unrolled: 4-line block ×3, first 2 shown]
	s_wait_alu 0xfffd
	v_cndmask_b32_e32 v108, v108, v77, vcc_lo
	v_cmp_gt_i32_e32 vcc_lo, 1, v45
	v_and_b32_e32 v77, 7, v101
	v_lshrrev_b32_e32 v101, 2, v101
	s_wait_alu 0xfffd
	v_cndmask_b32_e32 v111, v111, v75, vcc_lo
	v_cmp_gt_i32_e32 vcc_lo, 1, v43
	v_and_b32_e32 v75, 7, v81
	v_cmp_lt_i32_e64 s1, 5, v77
	v_cmp_eq_u32_e64 s2, 3, v77
	s_wait_alu 0xfffd
	v_dual_cndmask_b32 v112, v78, v79 :: v_dual_and_b32 v77, 7, v88
	v_cmp_gt_i32_e32 vcc_lo, 1, v41
	v_and_b32_e32 v78, 7, v85
	v_cmp_lt_i32_e64 s44, 5, v75
	v_cmp_eq_u32_e64 s45, 3, v75
	v_and_b32_e32 v75, 7, v87
	s_wait_alu 0xfffd
	v_dual_cndmask_b32 v113, v76, v82 :: v_dual_and_b32 v76, 7, v80
	v_cmp_lt_i32_e64 s3, 5, v78
	v_cmp_eq_u32_e64 s4, 3, v78
	v_lshrrev_b32_e32 v85, 2, v85
	s_or_b32 s1, s2, s1
	v_cmp_lt_i32_e64 s46, 5, v76
	v_cmp_eq_u32_e64 s47, 3, v76
	v_and_b32_e32 v76, 7, v106
	v_cmp_lt_i32_e64 s7, 5, v75
	v_cmp_eq_u32_e64 s10, 3, v75
	s_wait_alu 0xfffe
	v_add_co_ci_u32_e64 v101, s1, 0, v101, s1
	v_lshrrev_b32_e32 v87, 2, v87
	s_or_b32 s1, s4, s3
	v_cmp_lt_i32_e64 s11, 5, v76
	v_cmp_eq_u32_e64 s12, 3, v76
	v_and_b32_e32 v78, 7, v90
	s_wait_alu 0xfffe
	v_add_co_ci_u32_e64 v85, s1, 0, v85, s1
	v_lshrrev_b32_e32 v106, 2, v106
	s_or_b32 s1, s10, s7
	v_cmp_lt_i32_e64 s13, 5, v77
	v_cmp_eq_u32_e64 s15, 3, v77
	v_and_b32_e32 v75, 7, v94
	;; [unrolled: 7-line block ×3, first 2 shown]
	s_wait_alu 0xfffe
	v_add_co_ci_u32_e64 v106, s1, 0, v106, s1
	v_lshrrev_b32_e32 v90, 2, v90
	s_or_b32 s1, s15, s13
	v_and_b32_e32 v77, 7, v91
	v_cmp_lt_i32_e64 s20, 5, v75
	v_cmp_eq_u32_e64 s24, 3, v75
	s_wait_alu 0xfffe
	v_add_co_ci_u32_e64 v88, s1, 0, v88, s1
	v_and_b32_e32 v78, 7, v93
	v_lshrrev_b32_e32 v94, 2, v94
	s_or_b32 s1, s18, s17
	v_cmp_lt_i32_e64 s21, 5, v76
	v_cmp_eq_u32_e64 s25, 3, v76
	v_and_b32_e32 v76, 7, v100
	s_wait_alu 0xfffe
	v_add_co_ci_u32_e64 v90, s1, 0, v90, s1
	v_cmp_lt_i32_e64 s22, 5, v77
	v_cmp_eq_u32_e64 s26, 3, v77
	v_and_b32_e32 v75, 7, v99
	v_and_b32_e32 v77, 7, v95
	v_lshrrev_b32_e32 v84, 2, v84
	s_or_b32 s1, s24, s20
	v_lshrrev_b32_e32 v81, 2, v81
	v_cmp_lt_i32_e64 s27, 5, v78
	v_cmp_eq_u32_e64 s28, 3, v78
	v_and_b32_e32 v78, 7, v97
	s_wait_alu 0xfffe
	v_add_co_ci_u32_e64 v94, s1, 0, v94, s1
	v_cmp_lt_i32_e32 vcc_lo, 5, v76
	v_cmp_eq_u32_e64 s0, 3, v76
	v_lshrrev_b32_e32 v91, 2, v91
	s_or_b32 s1, s25, s21
	v_lshrrev_b32_e32 v80, 2, v80
	s_or_b32 s44, s45, s44
	v_cmp_lt_i32_e64 s5, 5, v75
	v_cmp_eq_u32_e64 s8, 3, v75
	v_and_b32_e32 v75, 7, v103
	v_cmp_lt_i32_e64 s6, 5, v77
	v_cmp_eq_u32_e64 s9, 3, v77
	v_and_b32_e32 v77, 7, v109
	v_lshrrev_b32_e32 v100, 2, v100
	s_wait_alu 0xfffe
	v_add_co_ci_u32_e64 v84, s1, 0, v84, s1
	v_add_co_ci_u32_e64 v81, s44, 0, v81, s44
	v_lshrrev_b32_e32 v93, 2, v93
	s_or_b32 s1, s26, s22
	v_and_b32_e32 v76, 7, v107
	v_cmp_lt_i32_e64 s14, 5, v78
	v_cmp_eq_u32_e64 s16, 3, v78
	v_and_b32_e32 v78, 7, v104
	s_or_b32 s44, s47, s46
	s_wait_alu 0xf1fe
	v_add_co_ci_u32_e64 v91, s1, 0, v91, s1
	s_or_b32 vcc_lo, s0, vcc_lo
	v_add_co_ci_u32_e64 v80, s44, 0, v80, s44
	s_or_b32 s1, s28, s27
	v_cmp_lt_i32_e64 s19, 5, v75
	v_cmp_eq_u32_e64 s23, 3, v75
	v_and_b32_e32 v79, 7, v108
	v_cmp_lt_i32_e64 s31, 5, v77
	v_cmp_eq_u32_e64 s34, 3, v77
	v_add_co_u32 v75, s36, v15, s50
	v_and_b32_e32 v77, 7, v112
	v_cmp_gt_i32_e64 s44, 31, v96
	s_wait_alu 0xfffe
	v_add_co_ci_u32_e32 v100, vcc_lo, 0, v100, vcc_lo
	v_add_co_ci_u32_e64 v93, s1, 0, v93, s1
	v_cmp_gt_i32_e32 vcc_lo, 31, v52
	v_cmp_lt_i32_e64 s29, 5, v76
	v_cmp_eq_u32_e64 s30, 3, v76
	v_cmp_lt_i32_e64 s33, 5, v78
	v_cmp_eq_u32_e64 s35, 3, v78
	v_add_co_ci_u32_e64 v76, s36, s51, v16, s36
	v_and_b32_e32 v78, 7, v113
	v_lshrrev_b32_e32 v95, 2, v95
	v_and_b32_e32 v82, 7, v111
	v_cmp_lt_i32_e64 s36, 5, v79
	v_cmp_eq_u32_e64 s37, 3, v79
	v_cndmask_b32_e64 v79, 0, 1, s40
	v_cmp_lt_i32_e64 s40, 5, v77
	v_cmp_eq_u32_e64 s41, 3, v77
	v_add_co_u32 v77, s48, v75, s50
	s_wait_alu 0xf1ff
	v_cndmask_b32_e64 v81, 0x7c00, v81, s44
	v_cmp_gt_i32_e64 s44, 31, v98
	v_lshrrev_b32_e32 v97, 2, v97
	s_wait_alu 0xfffd
	v_cndmask_b32_e32 v93, 0x7c00, v93, vcc_lo
	s_or_b32 vcc_lo, s9, s6
	v_cmp_lt_i32_e64 s42, 5, v78
	v_cmp_eq_u32_e64 s43, 3, v78
	v_add_co_ci_u32_e64 v78, s48, s51, v76, s48
	v_cmp_ne_u32_e64 s48, 0, v69
	s_wait_alu 0xfffe
	v_add_co_ci_u32_e32 v95, vcc_lo, 0, v95, vcc_lo
	v_lshrrev_b32_e32 v103, 2, v103
	s_or_b32 vcc_lo, s16, s14
	v_cmp_lt_i32_e64 s38, 5, v82
	v_cmp_eq_u32_e64 s39, 3, v82
	v_lshl_or_b32 v79, v79, 9, 0x7c00
	v_cndmask_b32_e64 v82, 0x7c00, v80, s44
	v_cmp_eq_u32_e64 s44, 0x40f, v96
	s_wait_alu 0xfffe
	v_add_co_ci_u32_e32 v97, vcc_lo, 0, v97, vcc_lo
	v_lshrrev_b32_e32 v107, 2, v107
	s_or_b32 vcc_lo, s23, s19
	v_cndmask_b32_e64 v69, 0, 1, s48
	s_wait_alu 0xfffe
	v_add_co_ci_u32_e32 v103, vcc_lo, 0, v103, vcc_lo
	v_cndmask_b32_e64 v92, v81, v79, s44
	v_add_co_u32 v79, s44, v77, s50
	v_lshrrev_b32_e32 v109, 2, v109
	s_or_b32 vcc_lo, s30, s29
	s_wait_alu 0xf1ff
	v_add_co_ci_u32_e64 v80, s44, s51, v78, s44
	s_wait_alu 0xfffe
	v_add_co_ci_u32_e32 v107, vcc_lo, 0, v107, vcc_lo
	v_lshl_or_b32 v69, v69, 9, 0x7c00
	v_cmp_eq_u32_e64 s44, 0x40f, v98
	v_lshrrev_b32_e32 v104, 2, v104
	s_or_b32 vcc_lo, s34, s31
	v_lshrrev_b32_e32 v108, 2, v108
	s_wait_alu 0xfffe
	v_add_co_ci_u32_e32 v109, vcc_lo, 0, v109, vcc_lo
	s_or_b32 vcc_lo, s35, s33
	s_wait_alu 0xf1ff
	v_cndmask_b32_e64 v69, v82, v69, s44
	v_add_co_u32 v81, s44, v79, s50
	s_wait_alu 0xfffe
	v_add_co_ci_u32_e32 v104, vcc_lo, 0, v104, vcc_lo
	v_lshrrev_b32_e32 v111, 2, v111
	s_or_b32 vcc_lo, s37, s36
	v_add_co_ci_u32_e64 v82, s44, s51, v80, s44
	v_cmp_ne_u32_e64 s44, 0, v83
	s_wait_alu 0xfffe
	v_add_co_ci_u32_e32 v108, vcc_lo, 0, v108, vcc_lo
	v_lshrrev_b32_e32 v112, 2, v112
	s_or_b32 vcc_lo, s39, s38
	v_lshrrev_b32_e32 v113, 2, v113
	s_wait_alu 0xfffe
	v_add_co_ci_u32_e32 v111, vcc_lo, 0, v111, vcc_lo
	s_or_b32 vcc_lo, s41, s40
	v_cndmask_b32_e64 v83, 0, 1, s44
	v_cmp_ne_u32_e64 s44, 0, v62
	v_cmp_gt_i32_e64 s1, 31, v42
	s_wait_alu 0xfffe
	v_add_co_ci_u32_e32 v112, vcc_lo, 0, v112, vcc_lo
	s_or_b32 vcc_lo, s43, s42
	s_wait_alu 0xf1ff
	v_cndmask_b32_e64 v62, 0, 1, s44
	s_wait_alu 0xfffe
	v_add_co_ci_u32_e32 v113, vcc_lo, 0, v113, vcc_lo
	v_cmp_ne_u32_e64 s44, 0, v63
	v_lshl_or_b32 v83, v83, 9, 0x7c00
	v_cndmask_b32_e64 v101, 0x7c00, v101, s1
	v_cmp_gt_i32_e64 s1, 31, v40
	v_cmp_eq_u32_e32 vcc_lo, 0x40f, v42
	s_wait_alu 0xf1ff
	v_cndmask_b32_e64 v63, 0, 1, s44
	v_cmp_ne_u32_e64 s44, 0, v64
	v_lshl_or_b32 v62, v62, 9, 0x7c00
	v_cndmask_b32_e64 v85, 0x7c00, v85, s1
	v_cmp_gt_i32_e64 s1, 31, v44
	s_wait_alu 0xfffd
	v_cndmask_b32_e32 v42, v101, v83, vcc_lo
	v_cmp_eq_u32_e32 vcc_lo, 0x40f, v40
	s_wait_alu 0xf1ff
	v_cndmask_b32_e64 v64, 0, 1, s44
	v_cmp_ne_u32_e64 s44, 0, v65
	v_lshl_or_b32 v63, v63, 9, 0x7c00
	v_cndmask_b32_e64 v87, 0x7c00, v87, s1
	v_cmp_gt_i32_e64 s1, 31, v57
	s_wait_alu 0xfffd
	v_cndmask_b32_e32 v40, v85, v62, vcc_lo
	;; [unrolled: 9-line block ×6, first 2 shown]
	v_cmp_eq_u32_e32 vcc_lo, 0x40f, v59
	s_wait_alu 0xf1ff
	v_cndmask_b32_e64 v70, 0, 1, s44
	v_lshl_or_b32 v68, v68, 9, 0x7c00
	v_cndmask_b32_e64 v84, 0x7c00, v84, s1
	v_cmp_gt_i32_e64 s1, 31, v61
	s_wait_alu 0xfffd
	v_cndmask_b32_e32 v59, v94, v67, vcc_lo
	v_cmp_eq_u32_e32 vcc_lo, 0x40f, v58
	v_lshl_or_b32 v70, v70, 9, 0x7c00
	v_lshrrev_b32_e32 v99, 2, v99
	s_wait_alu 0xf1ff
	v_cndmask_b32_e64 v91, 0x7c00, v91, s1
	s_or_b32 s1, s8, s5
	s_wait_alu 0xfffd
	v_cndmask_b32_e32 v58, v84, v68, vcc_lo
	v_cmp_eq_u32_e32 vcc_lo, 0x40f, v61
	v_cmp_ne_u32_e64 s44, 0, v71
	s_wait_alu 0xfffe
	v_add_co_ci_u32_e64 v99, s1, 0, v99, s1
	v_and_or_b32 v25, 0x8000, v25, v42
	s_wait_alu 0xfffd
	v_cndmask_b32_e32 v61, v91, v70, vcc_lo
	v_cmp_gt_i32_e32 vcc_lo, 31, v55
	s_wait_alu 0xf1ff
	v_cndmask_b32_e64 v71, 0, 1, s44
	v_cmp_ne_u32_e64 s44, 0, v73
	v_and_or_b32 v24, 0x8000, v24, v40
	v_and_or_b32 v23, 0x8000, v23, v44
	s_wait_alu 0xfffd
	v_cndmask_b32_e32 v62, 0x7c00, v99, vcc_lo
	v_cmp_gt_i32_e32 vcc_lo, 31, v56
	v_lshl_or_b32 v71, v71, 9, 0x7c00
	s_wait_alu 0xf1ff
	v_cndmask_b32_e64 v73, 0, 1, s44
	v_cmp_ne_u32_e64 s44, 0, v74
	v_and_or_b32 v27, 0x8000, v27, v92
	s_wait_alu 0xfffd
	v_cndmask_b32_e32 v63, 0x7c00, v100, vcc_lo
	v_cmp_eq_u32_e32 vcc_lo, 0x40f, v52
	v_lshl_or_b32 v73, v73, 9, 0x7c00
	s_wait_alu 0xf1ff
	v_cndmask_b32_e64 v74, 0, 1, s44
	v_cmp_ne_u32_e64 s44, 0, v72
	v_and_or_b32 v26, 0x8000, v26, v69
	s_wait_alu 0xfffd
	v_cndmask_b32_e32 v52, v93, v71, vcc_lo
	v_cmp_gt_i32_e32 vcc_lo, 31, v53
	v_lshl_or_b32 v74, v74, 9, 0x7c00
	s_wait_alu 0xf1ff
	v_cndmask_b32_e64 v72, 0, 1, s44
	v_cmp_ne_u32_e64 s44, 0, v102
	v_and_or_b32 v22, 0x8000, v22, v57
	s_wait_alu 0xfffd
	v_cndmask_b32_e32 v64, 0x7c00, v95, vcc_lo
	v_cmp_gt_i32_e32 vcc_lo, 31, v49
	;; [unrolled: 8-line block ×8, first 2 shown]
	v_lshl_or_b32 v114, v114, 9, 0x7c00
	s_wait_alu 0xf1ff
	v_cndmask_b32_e64 v115, 0, 1, s44
	v_cmp_ne_u32_e64 s44, 0, v86
	s_wait_alu 0xfffd
	v_cndmask_b32_e32 v83, 0x7c00, v111, vcc_lo
	v_cmp_gt_i32_e32 vcc_lo, 31, v43
	v_lshl_or_b32 v115, v115, 9, 0x7c00
	s_wait_alu 0xf1ff
	v_cndmask_b32_e64 v86, 0, 1, s44
	v_cmp_ne_u32_e64 s44, 0, v89
	s_wait_alu 0xfffd
	v_cndmask_b32_e32 v84, 0x7c00, v112, vcc_lo
	v_cmp_gt_i32_e32 vcc_lo, 31, v41
	v_lshl_or_b32 v86, v86, 9, 0x7c00
	s_wait_alu 0xf1ff
	v_cndmask_b32_e64 v89, 0, 1, s44
	s_wait_alu 0xfffd
	v_cndmask_b32_e32 v85, 0x7c00, v113, vcc_lo
	v_cmp_eq_u32_e32 vcc_lo, 0x40f, v55
	s_delay_alu instid0(VALU_DEP_3) | instskip(SKIP_3) | instid1(VALU_DEP_2)
	v_lshl_or_b32 v89, v89, 9, 0x7c00
	s_wait_alu 0xfffd
	v_cndmask_b32_e32 v55, v62, v73, vcc_lo
	v_cmp_eq_u32_e32 vcc_lo, 0x40f, v56
	v_and_or_b32 v28, 0x8000, v28, v55
	s_wait_alu 0xfffd
	v_cndmask_b32_e32 v56, v63, v74, vcc_lo
	v_cmp_eq_u32_e32 vcc_lo, 0x40f, v53
	s_delay_alu instid0(VALU_DEP_3) | instskip(NEXT) | instid1(VALU_DEP_3)
	v_and_b32_e32 v28, 0xffff, v28
	v_and_or_b32 v29, 0x8000, v29, v56
	s_wait_alu 0xfffd
	v_cndmask_b32_e32 v53, v64, v72, vcc_lo
	v_cmp_eq_u32_e32 vcc_lo, 0x40f, v49
	v_lshl_or_b32 v27, v27, 16, v28
	v_and_b32_e32 v29, 0xffff, v29
	s_delay_alu instid0(VALU_DEP_4)
	v_and_or_b32 v30, 0x8000, v30, v53
	s_wait_alu 0xfffd
	v_cndmask_b32_e32 v42, v65, v96, vcc_lo
	v_cmp_eq_u32_e32 vcc_lo, 0x40f, v51
	v_lshl_or_b32 v26, v26, 16, v29
	v_and_b32_e32 v30, 0xffff, v30
	s_delay_alu instid0(VALU_DEP_4)
	;; [unrolled: 7-line block ×8, first 2 shown]
	v_and_or_b32 v37, 0x8000, v37, v45
	s_wait_alu 0xfffd
	v_cndmask_b32_e32 v43, v84, v86, vcc_lo
	v_cmp_eq_u32_e32 vcc_lo, 0x40f, v41
	v_lshl_or_b32 v19, v19, 16, v36
	v_and_b32_e32 v37, 0xffff, v37
	s_delay_alu instid0(VALU_DEP_4) | instskip(SKIP_2) | instid1(VALU_DEP_3)
	v_and_or_b32 v38, 0x8000, v38, v43
	s_wait_alu 0xfffd
	v_cndmask_b32_e32 v41, v85, v89, vcc_lo
	v_lshl_or_b32 v18, v18, 16, v37
	s_delay_alu instid0(VALU_DEP_3) | instskip(NEXT) | instid1(VALU_DEP_3)
	v_and_b32_e32 v38, 0xffff, v38
	v_and_or_b32 v39, 0x8000, v39, v41
	s_delay_alu instid0(VALU_DEP_2) | instskip(NEXT) | instid1(VALU_DEP_2)
	v_lshl_or_b32 v17, v17, 16, v38
	v_and_b32_e32 v39, 0xffff, v39
	s_delay_alu instid0(VALU_DEP_1)
	v_lshl_or_b32 v8, v8, 16, v39
	s_clause 0x4
	global_store_b32 v[9:10], v27, off
	global_store_b32 v[11:12], v26, off
	;; [unrolled: 1-line block ×12, first 2 shown]
.LBB0_2:
	s_nop 0
	s_sendmsg sendmsg(MSG_DEALLOC_VGPRS)
	s_endpgm
	.section	.rodata,"a",@progbits
	.p2align	6, 0x0
	.amdhsa_kernel bluestein_single_fwd_len384_dim1_half_op_CI_CI
		.amdhsa_group_segment_fixed_size 6144
		.amdhsa_private_segment_fixed_size 0
		.amdhsa_kernarg_size 104
		.amdhsa_user_sgpr_count 2
		.amdhsa_user_sgpr_dispatch_ptr 0
		.amdhsa_user_sgpr_queue_ptr 0
		.amdhsa_user_sgpr_kernarg_segment_ptr 1
		.amdhsa_user_sgpr_dispatch_id 0
		.amdhsa_user_sgpr_private_segment_size 0
		.amdhsa_wavefront_size32 1
		.amdhsa_uses_dynamic_stack 0
		.amdhsa_enable_private_segment 0
		.amdhsa_system_sgpr_workgroup_id_x 1
		.amdhsa_system_sgpr_workgroup_id_y 0
		.amdhsa_system_sgpr_workgroup_id_z 0
		.amdhsa_system_sgpr_workgroup_info 0
		.amdhsa_system_vgpr_workitem_id 0
		.amdhsa_next_free_vgpr 126
		.amdhsa_next_free_sgpr 52
		.amdhsa_reserve_vcc 1
		.amdhsa_float_round_mode_32 0
		.amdhsa_float_round_mode_16_64 0
		.amdhsa_float_denorm_mode_32 3
		.amdhsa_float_denorm_mode_16_64 3
		.amdhsa_fp16_overflow 0
		.amdhsa_workgroup_processor_mode 1
		.amdhsa_memory_ordered 1
		.amdhsa_forward_progress 0
		.amdhsa_round_robin_scheduling 0
		.amdhsa_exception_fp_ieee_invalid_op 0
		.amdhsa_exception_fp_denorm_src 0
		.amdhsa_exception_fp_ieee_div_zero 0
		.amdhsa_exception_fp_ieee_overflow 0
		.amdhsa_exception_fp_ieee_underflow 0
		.amdhsa_exception_fp_ieee_inexact 0
		.amdhsa_exception_int_div_zero 0
	.end_amdhsa_kernel
	.text
.Lfunc_end0:
	.size	bluestein_single_fwd_len384_dim1_half_op_CI_CI, .Lfunc_end0-bluestein_single_fwd_len384_dim1_half_op_CI_CI
                                        ; -- End function
	.section	.AMDGPU.csdata,"",@progbits
; Kernel info:
; codeLenInByte = 16960
; NumSgprs: 54
; NumVgprs: 126
; ScratchSize: 0
; MemoryBound: 0
; FloatMode: 240
; IeeeMode: 1
; LDSByteSize: 6144 bytes/workgroup (compile time only)
; SGPRBlocks: 6
; VGPRBlocks: 15
; NumSGPRsForWavesPerEU: 54
; NumVGPRsForWavesPerEU: 126
; Occupancy: 10
; WaveLimiterHint : 1
; COMPUTE_PGM_RSRC2:SCRATCH_EN: 0
; COMPUTE_PGM_RSRC2:USER_SGPR: 2
; COMPUTE_PGM_RSRC2:TRAP_HANDLER: 0
; COMPUTE_PGM_RSRC2:TGID_X_EN: 1
; COMPUTE_PGM_RSRC2:TGID_Y_EN: 0
; COMPUTE_PGM_RSRC2:TGID_Z_EN: 0
; COMPUTE_PGM_RSRC2:TIDIG_COMP_CNT: 0
	.text
	.p2alignl 7, 3214868480
	.fill 96, 4, 3214868480
	.type	__hip_cuid_d2025ec6d6a817bb,@object ; @__hip_cuid_d2025ec6d6a817bb
	.section	.bss,"aw",@nobits
	.globl	__hip_cuid_d2025ec6d6a817bb
__hip_cuid_d2025ec6d6a817bb:
	.byte	0                               ; 0x0
	.size	__hip_cuid_d2025ec6d6a817bb, 1

	.ident	"AMD clang version 19.0.0git (https://github.com/RadeonOpenCompute/llvm-project roc-6.4.0 25133 c7fe45cf4b819c5991fe208aaa96edf142730f1d)"
	.section	".note.GNU-stack","",@progbits
	.addrsig
	.addrsig_sym __hip_cuid_d2025ec6d6a817bb
	.amdgpu_metadata
---
amdhsa.kernels:
  - .args:
      - .actual_access:  read_only
        .address_space:  global
        .offset:         0
        .size:           8
        .value_kind:     global_buffer
      - .actual_access:  read_only
        .address_space:  global
        .offset:         8
        .size:           8
        .value_kind:     global_buffer
      - .actual_access:  read_only
        .address_space:  global
        .offset:         16
        .size:           8
        .value_kind:     global_buffer
      - .actual_access:  read_only
        .address_space:  global
        .offset:         24
        .size:           8
        .value_kind:     global_buffer
      - .actual_access:  read_only
        .address_space:  global
        .offset:         32
        .size:           8
        .value_kind:     global_buffer
      - .offset:         40
        .size:           8
        .value_kind:     by_value
      - .address_space:  global
        .offset:         48
        .size:           8
        .value_kind:     global_buffer
      - .address_space:  global
        .offset:         56
        .size:           8
        .value_kind:     global_buffer
      - .address_space:  global
        .offset:         64
        .size:           8
        .value_kind:     global_buffer
      - .address_space:  global
        .offset:         72
        .size:           8
        .value_kind:     global_buffer
      - .offset:         80
        .size:           4
        .value_kind:     by_value
      - .address_space:  global
        .offset:         88
        .size:           8
        .value_kind:     global_buffer
      - .address_space:  global
        .offset:         96
        .size:           8
        .value_kind:     global_buffer
    .group_segment_fixed_size: 6144
    .kernarg_segment_align: 8
    .kernarg_segment_size: 104
    .language:       OpenCL C
    .language_version:
      - 2
      - 0
    .max_flat_workgroup_size: 128
    .name:           bluestein_single_fwd_len384_dim1_half_op_CI_CI
    .private_segment_fixed_size: 0
    .sgpr_count:     54
    .sgpr_spill_count: 0
    .symbol:         bluestein_single_fwd_len384_dim1_half_op_CI_CI.kd
    .uniform_work_group_size: 1
    .uses_dynamic_stack: false
    .vgpr_count:     126
    .vgpr_spill_count: 0
    .wavefront_size: 32
    .workgroup_processor_mode: 1
amdhsa.target:   amdgcn-amd-amdhsa--gfx1201
amdhsa.version:
  - 1
  - 2
...

	.end_amdgpu_metadata
